;; amdgpu-corpus repo=ROCm/rocFFT kind=compiled arch=gfx950 opt=O3
	.text
	.amdgcn_target "amdgcn-amd-amdhsa--gfx950"
	.amdhsa_code_object_version 6
	.protected	fft_rtc_back_len1445_factors_17_5_17_wgs_85_tpt_85_halfLds_sp_op_CI_CI_sbrr_dirReg ; -- Begin function fft_rtc_back_len1445_factors_17_5_17_wgs_85_tpt_85_halfLds_sp_op_CI_CI_sbrr_dirReg
	.globl	fft_rtc_back_len1445_factors_17_5_17_wgs_85_tpt_85_halfLds_sp_op_CI_CI_sbrr_dirReg
	.p2align	8
	.type	fft_rtc_back_len1445_factors_17_5_17_wgs_85_tpt_85_halfLds_sp_op_CI_CI_sbrr_dirReg,@function
fft_rtc_back_len1445_factors_17_5_17_wgs_85_tpt_85_halfLds_sp_op_CI_CI_sbrr_dirReg: ; @fft_rtc_back_len1445_factors_17_5_17_wgs_85_tpt_85_halfLds_sp_op_CI_CI_sbrr_dirReg
; %bb.0:
	s_load_dwordx4 s[12:15], s[0:1], 0x18
	s_load_dwordx4 s[8:11], s[0:1], 0x0
	;; [unrolled: 1-line block ×3, first 2 shown]
	v_mul_u32_u24_e32 v1, 0x304, v0
	v_add_u32_sdwa v8, s2, v1 dst_sel:DWORD dst_unused:UNUSED_PAD src0_sel:DWORD src1_sel:WORD_1
	s_waitcnt lgkmcnt(0)
	s_load_dwordx2 s[18:19], s[12:13], 0x0
	s_load_dwordx2 s[16:17], s[14:15], 0x0
	v_mov_b32_e32 v6, 0
	v_cmp_lt_u64_e64 s[2:3], s[10:11], 2
	v_mov_b32_e32 v9, v6
	s_and_b64 vcc, exec, s[2:3]
	v_mov_b64_e32 v[40:41], 0
	s_cbranch_vccnz .LBB0_8
; %bb.1:
	s_load_dwordx2 s[2:3], s[0:1], 0x10
	s_add_u32 s20, s14, 8
	s_addc_u32 s21, s15, 0
	s_add_u32 s22, s12, 8
	s_addc_u32 s23, s13, 0
	s_waitcnt lgkmcnt(0)
	s_add_u32 s24, s2, 8
	v_mov_b64_e32 v[40:41], 0
	s_addc_u32 s25, s3, 0
	s_mov_b64 s[26:27], 1
	v_mov_b64_e32 v[2:3], v[40:41]
.LBB0_2:                                ; =>This Inner Loop Header: Depth=1
	s_load_dwordx2 s[28:29], s[24:25], 0x0
                                        ; implicit-def: $vgpr4_vgpr5
	s_waitcnt lgkmcnt(0)
	v_or_b32_e32 v7, s29, v9
	v_cmp_ne_u64_e32 vcc, 0, v[6:7]
	s_and_saveexec_b64 s[2:3], vcc
	s_xor_b64 s[30:31], exec, s[2:3]
	s_cbranch_execz .LBB0_4
; %bb.3:                                ;   in Loop: Header=BB0_2 Depth=1
	v_cvt_f32_u32_e32 v1, s28
	v_cvt_f32_u32_e32 v4, s29
	s_sub_u32 s2, 0, s28
	s_subb_u32 s3, 0, s29
	v_fmac_f32_e32 v1, 0x4f800000, v4
	v_rcp_f32_e32 v1, v1
	s_nop 0
	v_mul_f32_e32 v1, 0x5f7ffffc, v1
	v_mul_f32_e32 v4, 0x2f800000, v1
	v_trunc_f32_e32 v4, v4
	v_fmac_f32_e32 v1, 0xcf800000, v4
	v_cvt_u32_f32_e32 v7, v4
	v_cvt_u32_f32_e32 v1, v1
	v_mul_lo_u32 v4, s2, v7
	v_mul_hi_u32 v10, s2, v1
	v_mul_lo_u32 v5, s3, v1
	v_add_u32_e32 v10, v10, v4
	v_mul_lo_u32 v12, s2, v1
	v_add_u32_e32 v13, v10, v5
	v_mul_hi_u32 v4, v1, v12
	v_mul_hi_u32 v11, v1, v13
	v_mul_lo_u32 v10, v1, v13
	v_mov_b32_e32 v5, v6
	v_lshl_add_u64 v[4:5], v[4:5], 0, v[10:11]
	v_mul_hi_u32 v11, v7, v12
	v_mul_lo_u32 v12, v7, v12
	v_add_co_u32_e32 v4, vcc, v4, v12
	v_mul_hi_u32 v10, v7, v13
	s_nop 0
	v_addc_co_u32_e32 v4, vcc, v5, v11, vcc
	v_mov_b32_e32 v5, v6
	s_nop 0
	v_addc_co_u32_e32 v11, vcc, 0, v10, vcc
	v_mul_lo_u32 v10, v7, v13
	v_lshl_add_u64 v[4:5], v[4:5], 0, v[10:11]
	v_add_co_u32_e32 v1, vcc, v1, v4
	v_mul_lo_u32 v10, s2, v1
	s_nop 0
	v_addc_co_u32_e32 v7, vcc, v7, v5, vcc
	v_mul_lo_u32 v4, s2, v7
	v_mul_hi_u32 v5, s2, v1
	v_add_u32_e32 v4, v5, v4
	v_mul_lo_u32 v5, s3, v1
	v_add_u32_e32 v12, v4, v5
	v_mul_hi_u32 v14, v7, v10
	v_mul_lo_u32 v15, v7, v10
	v_mul_hi_u32 v5, v1, v12
	v_mul_lo_u32 v4, v1, v12
	v_mul_hi_u32 v10, v1, v10
	v_mov_b32_e32 v11, v6
	v_lshl_add_u64 v[4:5], v[10:11], 0, v[4:5]
	v_add_co_u32_e32 v4, vcc, v4, v15
	v_mul_hi_u32 v13, v7, v12
	s_nop 0
	v_addc_co_u32_e32 v4, vcc, v5, v14, vcc
	v_mul_lo_u32 v10, v7, v12
	s_nop 0
	v_addc_co_u32_e32 v11, vcc, 0, v13, vcc
	v_mov_b32_e32 v5, v6
	v_lshl_add_u64 v[4:5], v[4:5], 0, v[10:11]
	v_add_co_u32_e32 v1, vcc, v1, v4
	v_mul_hi_u32 v10, v8, v1
	s_nop 0
	v_addc_co_u32_e32 v7, vcc, v7, v5, vcc
	v_mad_u64_u32 v[4:5], s[2:3], v8, v7, 0
	v_mov_b32_e32 v11, v6
	v_lshl_add_u64 v[4:5], v[10:11], 0, v[4:5]
	v_mad_u64_u32 v[12:13], s[2:3], v9, v1, 0
	v_add_co_u32_e32 v1, vcc, v4, v12
	v_mad_u64_u32 v[10:11], s[2:3], v9, v7, 0
	s_nop 0
	v_addc_co_u32_e32 v4, vcc, v5, v13, vcc
	v_mov_b32_e32 v5, v6
	s_nop 0
	v_addc_co_u32_e32 v11, vcc, 0, v11, vcc
	v_lshl_add_u64 v[4:5], v[4:5], 0, v[10:11]
	v_mul_lo_u32 v1, s29, v4
	v_mul_lo_u32 v7, s28, v5
	v_mad_u64_u32 v[10:11], s[2:3], s28, v4, 0
	v_add3_u32 v1, v11, v7, v1
	v_sub_u32_e32 v7, v9, v1
	v_mov_b32_e32 v11, s29
	v_sub_co_u32_e32 v14, vcc, v8, v10
	v_lshl_add_u64 v[12:13], v[4:5], 0, 1
	s_nop 0
	v_subb_co_u32_e64 v7, s[2:3], v7, v11, vcc
	v_subrev_co_u32_e64 v10, s[2:3], s28, v14
	v_subb_co_u32_e32 v1, vcc, v9, v1, vcc
	s_nop 0
	v_subbrev_co_u32_e64 v7, s[2:3], 0, v7, s[2:3]
	v_cmp_le_u32_e64 s[2:3], s29, v7
	v_cmp_le_u32_e32 vcc, s29, v1
	s_nop 0
	v_cndmask_b32_e64 v11, 0, -1, s[2:3]
	v_cmp_le_u32_e64 s[2:3], s28, v10
	s_nop 1
	v_cndmask_b32_e64 v10, 0, -1, s[2:3]
	v_cmp_eq_u32_e64 s[2:3], s29, v7
	s_nop 1
	v_cndmask_b32_e64 v7, v11, v10, s[2:3]
	v_lshl_add_u64 v[10:11], v[4:5], 0, 2
	v_cmp_ne_u32_e64 s[2:3], 0, v7
	s_nop 1
	v_cndmask_b32_e64 v7, v13, v11, s[2:3]
	v_cndmask_b32_e64 v11, 0, -1, vcc
	v_cmp_le_u32_e32 vcc, s28, v14
	s_nop 1
	v_cndmask_b32_e64 v13, 0, -1, vcc
	v_cmp_eq_u32_e32 vcc, s29, v1
	s_nop 1
	v_cndmask_b32_e32 v1, v11, v13, vcc
	v_cmp_ne_u32_e32 vcc, 0, v1
	v_cndmask_b32_e64 v1, v12, v10, s[2:3]
	s_nop 0
	v_cndmask_b32_e32 v5, v5, v7, vcc
	v_cndmask_b32_e32 v4, v4, v1, vcc
.LBB0_4:                                ;   in Loop: Header=BB0_2 Depth=1
	s_andn2_saveexec_b64 s[2:3], s[30:31]
	s_cbranch_execz .LBB0_6
; %bb.5:                                ;   in Loop: Header=BB0_2 Depth=1
	v_cvt_f32_u32_e32 v1, s28
	s_sub_i32 s30, 0, s28
	v_rcp_iflag_f32_e32 v1, v1
	s_nop 0
	v_mul_f32_e32 v1, 0x4f7ffffe, v1
	v_cvt_u32_f32_e32 v1, v1
	v_mul_lo_u32 v4, s30, v1
	v_mul_hi_u32 v4, v1, v4
	v_add_u32_e32 v1, v1, v4
	v_mul_hi_u32 v1, v8, v1
	v_mul_lo_u32 v4, v1, s28
	v_sub_u32_e32 v4, v8, v4
	v_add_u32_e32 v5, 1, v1
	v_subrev_u32_e32 v7, s28, v4
	v_cmp_le_u32_e32 vcc, s28, v4
	s_nop 1
	v_cndmask_b32_e32 v4, v4, v7, vcc
	v_cndmask_b32_e32 v1, v1, v5, vcc
	v_add_u32_e32 v5, 1, v1
	v_cmp_le_u32_e32 vcc, s28, v4
	s_nop 1
	v_cndmask_b32_e32 v4, v1, v5, vcc
	v_mov_b32_e32 v5, v6
.LBB0_6:                                ;   in Loop: Header=BB0_2 Depth=1
	s_or_b64 exec, exec, s[2:3]
	v_mad_u64_u32 v[10:11], s[2:3], v4, s28, 0
	s_load_dwordx2 s[2:3], s[22:23], 0x0
	v_mul_lo_u32 v1, v5, s28
	v_mul_lo_u32 v7, v4, s29
	s_load_dwordx2 s[28:29], s[20:21], 0x0
	s_add_u32 s26, s26, 1
	v_add3_u32 v1, v11, v7, v1
	v_sub_co_u32_e32 v7, vcc, v8, v10
	s_addc_u32 s27, s27, 0
	s_nop 0
	v_subb_co_u32_e32 v1, vcc, v9, v1, vcc
	s_add_u32 s20, s20, 8
	s_waitcnt lgkmcnt(0)
	v_mul_lo_u32 v8, s2, v1
	v_mul_lo_u32 v9, s3, v7
	v_mad_u64_u32 v[40:41], s[2:3], s2, v7, v[40:41]
	s_addc_u32 s21, s21, 0
	v_add3_u32 v41, v9, v41, v8
	v_mul_lo_u32 v1, s28, v1
	v_mul_lo_u32 v8, s29, v7
	v_mad_u64_u32 v[2:3], s[2:3], s28, v7, v[2:3]
	s_add_u32 s22, s22, 8
	v_add3_u32 v3, v8, v3, v1
	s_addc_u32 s23, s23, 0
	v_mov_b64_e32 v[8:9], s[10:11]
	s_add_u32 s24, s24, 8
	v_cmp_ge_u64_e32 vcc, s[26:27], v[8:9]
	s_addc_u32 s25, s25, 0
	s_cbranch_vccnz .LBB0_9
; %bb.7:                                ;   in Loop: Header=BB0_2 Depth=1
	v_mov_b64_e32 v[8:9], v[4:5]
	s_branch .LBB0_2
.LBB0_8:
	v_mov_b64_e32 v[2:3], v[40:41]
	v_mov_b64_e32 v[4:5], v[8:9]
.LBB0_9:
	s_load_dwordx2 s[0:1], s[0:1], 0x28
	s_lshl_b64 s[10:11], s[10:11], 3
	s_add_u32 s2, s14, s10
	s_addc_u32 s3, s15, s11
                                        ; implicit-def: $sgpr14_sgpr15
                                        ; implicit-def: $sgpr20
                                        ; implicit-def: $vgpr81
                                        ; implicit-def: $vgpr89
                                        ; implicit-def: $vgpr87
                                        ; implicit-def: $vgpr85
	s_waitcnt lgkmcnt(0)
	v_cmp_gt_u64_e32 vcc, s[0:1], v[4:5]
	v_cmp_le_u64_e64 s[0:1], s[0:1], v[4:5]
	s_and_saveexec_b64 s[22:23], s[0:1]
	s_xor_b64 s[0:1], exec, s[22:23]
; %bb.10:
	s_mov_b32 s14, 0x3030304
	v_mul_hi_u32 v1, v0, s14
	v_mul_u32_u24_e32 v1, 0x55, v1
	v_sub_u32_e32 v81, v0, v1
	v_add_u32_e32 v89, 0x55, v81
	v_add_u32_e32 v87, 0xaa, v81
	;; [unrolled: 1-line block ×3, first 2 shown]
	s_mov_b32 s20, 0
	s_mov_b64 s[14:15], 0
                                        ; implicit-def: $vgpr0
                                        ; implicit-def: $vgpr40_vgpr41
; %bb.11:
	s_or_saveexec_b64 s[0:1], s[0:1]
	v_mov_b32_e32 v83, s20
	v_mov_b64_e32 v[6:7], s[14:15]
                                        ; implicit-def: $vgpr24
                                        ; implicit-def: $vgpr26
                                        ; implicit-def: $vgpr10
                                        ; implicit-def: $vgpr8
                                        ; implicit-def: $vgpr28
                                        ; implicit-def: $vgpr30
                                        ; implicit-def: $vgpr20
                                        ; implicit-def: $vgpr14
                                        ; implicit-def: $vgpr32
                                        ; implicit-def: $vgpr34
                                        ; implicit-def: $vgpr12
                                        ; implicit-def: $vgpr16
                                        ; implicit-def: $vgpr36
                                        ; implicit-def: $vgpr38
                                        ; implicit-def: $vgpr22
                                        ; implicit-def: $vgpr18
	s_xor_b64 exec, exec, s[0:1]
	s_cbranch_execz .LBB0_13
; %bb.12:
	s_add_u32 s10, s12, s10
	s_addc_u32 s11, s13, s11
	s_load_dwordx2 s[10:11], s[10:11], 0x0
	s_mov_b32 s12, 0x3030304
	s_waitcnt lgkmcnt(0)
	v_mul_lo_u32 v1, s11, v4
	v_mul_lo_u32 v8, s10, v5
	v_mad_u64_u32 v[6:7], s[10:11], s10, v4, 0
	v_add3_u32 v7, v7, v8, v1
	v_mul_hi_u32 v1, v0, s12
	v_mul_u32_u24_e32 v1, 0x55, v1
	v_sub_u32_e32 v81, v0, v1
	v_mad_u64_u32 v[0:1], s[10:11], s18, v81, 0
	v_mov_b32_e32 v8, v1
	v_add_u32_e32 v89, 0x55, v81
	v_mad_u64_u32 v[24:25], s[10:11], s19, v81, v[8:9]
	v_lshl_add_u64 v[6:7], v[6:7], 3, s[4:5]
	v_mad_u64_u32 v[8:9], s[4:5], s18, v89, 0
	v_mov_b32_e32 v10, v9
	v_mad_u64_u32 v[10:11], s[4:5], s19, v89, v[10:11]
	v_add_u32_e32 v87, 0xaa, v81
	v_mov_b32_e32 v9, v10
	v_mad_u64_u32 v[10:11], s[4:5], s18, v87, 0
	v_mov_b32_e32 v12, v11
	v_mad_u64_u32 v[12:13], s[4:5], s19, v87, v[12:13]
	v_add_u32_e32 v85, 0xff, v81
	v_mov_b32_e32 v11, v12
	v_mad_u64_u32 v[12:13], s[4:5], s18, v85, 0
	v_mov_b32_e32 v14, v13
	v_lshl_add_u64 v[6:7], v[40:41], 3, v[6:7]
	v_mad_u64_u32 v[14:15], s[4:5], s19, v85, v[14:15]
	v_lshl_add_u64 v[8:9], v[8:9], 3, v[6:7]
	v_mov_b32_e32 v13, v14
	v_add_u32_e32 v1, 0x154, v81
	v_lshl_add_u64 v[10:11], v[10:11], 3, v[6:7]
	v_lshl_add_u64 v[14:15], v[12:13], 3, v[6:7]
	global_load_dwordx2 v[22:23], v[8:9], off
	global_load_dwordx2 v[40:41], v[10:11], off
	;; [unrolled: 1-line block ×3, first 2 shown]
	v_mad_u64_u32 v[8:9], s[4:5], s18, v1, 0
	v_mov_b32_e32 v10, v9
	v_mad_u64_u32 v[10:11], s[4:5], s19, v1, v[10:11]
	v_add_u32_e32 v1, 0x1a9, v81
	v_mov_b32_e32 v9, v10
	v_mad_u64_u32 v[10:11], s[4:5], s18, v1, 0
	v_mov_b32_e32 v14, v11
	v_mad_u64_u32 v[14:15], s[4:5], s19, v1, v[14:15]
	v_mov_b32_e32 v11, v14
	v_add_u32_e32 v1, 0x1fe, v81
	v_lshl_add_u64 v[14:15], v[10:11], 3, v[6:7]
	v_mad_u64_u32 v[10:11], s[4:5], s18, v1, 0
	v_mov_b32_e32 v16, v11
	v_mad_u64_u32 v[16:17], s[4:5], s19, v1, v[16:17]
	v_mov_b32_e32 v11, v16
	v_add_u32_e32 v1, 0x253, v81
	v_lshl_add_u64 v[16:17], v[10:11], 3, v[6:7]
	v_mad_u64_u32 v[10:11], s[4:5], s18, v1, 0
	v_mov_b32_e32 v18, v11
	v_mad_u64_u32 v[18:19], s[4:5], s19, v1, v[18:19]
	v_lshl_add_u64 v[8:9], v[8:9], 3, v[6:7]
	v_mov_b32_e32 v11, v18
	v_add_u32_e32 v1, 0x2a8, v81
	v_lshl_add_u64 v[18:19], v[10:11], 3, v[6:7]
	global_load_dwordx2 v[36:37], v[8:9], off
	global_load_dwordx2 v[20:21], v[14:15], off
	;; [unrolled: 1-line block ×4, first 2 shown]
	v_mad_u64_u32 v[8:9], s[4:5], s18, v1, 0
	v_mov_b32_e32 v14, v9
	v_mad_u64_u32 v[14:15], s[4:5], s19, v1, v[14:15]
	v_mov_b32_e32 v9, v14
	v_add_u32_e32 v1, 0x2fd, v81
	v_lshl_add_u64 v[14:15], v[8:9], 3, v[6:7]
	v_mad_u64_u32 v[8:9], s[4:5], s18, v1, 0
	v_mov_b32_e32 v16, v9
	v_mad_u64_u32 v[16:17], s[4:5], s19, v1, v[16:17]
	v_mov_b32_e32 v9, v16
	v_add_u32_e32 v1, 0x352, v81
	v_lshl_add_u64 v[16:17], v[8:9], 3, v[6:7]
	v_mad_u64_u32 v[8:9], s[4:5], s18, v1, 0
	v_mov_b32_e32 v18, v9
	v_mad_u64_u32 v[18:19], s[4:5], s19, v1, v[18:19]
	v_mov_b32_e32 v9, v18
	v_add_u32_e32 v1, 0x3a7, v81
	v_lshl_add_u64 v[18:19], v[8:9], 3, v[6:7]
	v_mad_u64_u32 v[8:9], s[4:5], s18, v1, 0
	v_mov_b32_e32 v26, v9
	v_mad_u64_u32 v[26:27], s[4:5], s19, v1, v[26:27]
	v_mov_b32_e32 v9, v26
	v_add_u32_e32 v1, 0x3fc, v81
	v_lshl_add_u64 v[26:27], v[8:9], 3, v[6:7]
	global_load_dwordx2 v[28:29], v[14:15], off
	global_load_dwordx2 v[30:31], v[16:17], off
	;; [unrolled: 1-line block ×4, first 2 shown]
	v_mad_u64_u32 v[14:15], s[4:5], s18, v1, 0
	v_mov_b32_e32 v16, v15
	v_mad_u64_u32 v[16:17], s[4:5], s19, v1, v[16:17]
	v_mov_b32_e32 v15, v16
	v_add_u32_e32 v1, 0x451, v81
	v_lshl_add_u64 v[18:19], v[14:15], 3, v[6:7]
	v_mad_u64_u32 v[14:15], s[4:5], s18, v1, 0
	v_mov_b32_e32 v16, v15
	v_mad_u64_u32 v[16:17], s[4:5], s19, v1, v[16:17]
	v_mov_b32_e32 v15, v16
	v_add_u32_e32 v1, 0x4a6, v81
	v_lshl_add_u64 v[26:27], v[14:15], 3, v[6:7]
	;; [unrolled: 6-line block ×4, first 2 shown]
	global_load_dwordx2 v[14:15], v[18:19], off
	global_load_dwordx2 v[44:45], v[26:27], off
	;; [unrolled: 1-line block ×4, first 2 shown]
	v_mad_u64_u32 v[18:19], s[4:5], s18, v1, 0
	v_mov_b32_e32 v26, v19
	v_mad_u64_u32 v[26:27], s[4:5], s19, v1, v[26:27]
	v_mov_b32_e32 v19, v26
	v_lshl_add_u64 v[18:19], v[18:19], 3, v[6:7]
	v_mov_b32_e32 v1, v24
	global_load_dwordx2 v[18:19], v[18:19], off
	v_lshl_add_u64 v[0:1], v[0:1], 3, v[6:7]
	global_load_dwordx2 v[6:7], v[0:1], off
	v_mov_b32_e32 v83, v81
	s_waitcnt vmcnt(10)
	v_mov_b32_e32 v25, v10
	s_waitcnt vmcnt(9)
	v_mov_b32_e32 v24, v28
	s_waitcnt vmcnt(8)
	v_mov_b32_e32 v26, v30
	s_waitcnt vmcnt(7)
	v_mov_b32_e32 v27, v8
	v_mov_b32_e32 v10, v29
	;; [unrolled: 1-line block ×5, first 2 shown]
	s_waitcnt vmcnt(6)
	v_mov_b32_e32 v30, v34
	v_mov_b32_e32 v20, v33
	;; [unrolled: 1-line block ×8, first 2 shown]
	s_waitcnt vmcnt(5)
	v_mov_b32_e32 v31, v14
	v_mov_b32_e32 v14, v35
	s_waitcnt vmcnt(4)
	v_mov_b32_e32 v34, v44
	s_waitcnt vmcnt(3)
	v_mov_b32_e32 v35, v16
	v_mov_b32_e32 v16, v45
	s_waitcnt vmcnt(2)
	v_mov_b32_e32 v38, v46
	s_waitcnt vmcnt(1)
	v_mov_b32_e32 v39, v18
	v_mov_b32_e32 v18, v47
.LBB0_13:
	s_or_b64 exec, exec, s[0:1]
	s_waitcnt vmcnt(0)
	v_add_f32_e32 v0, v37, v6
	v_add_f32_e32 v0, v36, v0
	;; [unrolled: 1-line block ×6, first 2 shown]
	v_pk_add_f32 v[78:79], v[22:23], v[18:19] neg_lo:[0,1] neg_hi:[0,1]
	v_add_f32_e32 v62, v25, v0
	v_pk_add_f32 v[0:1], v[36:37], v[38:39]
	s_mov_b32 s4, 0x3f6eb680
	v_mul_f32_e32 v65, 0xbeb8f4ab, v79
	s_mov_b32 s26, 0xbf7ee86f
	v_fma_f32 v40, v1, s4, -v65
	s_mov_b32 s27, 0xbf2c7751
	v_add_f32_e32 v44, v40, v6
	v_mov_b32_e32 v40, v78
	v_mov_b32_e32 v41, v0
	s_mov_b32 s29, 0x3f3d2fb0
	s_mov_b32 s28, s27
	v_pk_mul_f32 v[42:43], v[40:41], s[28:29]
	s_mov_b32 s30, 0xbf4c4adb
	v_mov_b32_e32 v45, v42
	v_pk_fma_f32 v[66:67], v[40:41], s[28:29], v[44:45]
	s_mov_b32 s28, 0x3dbcf732
	v_sub_f32_e32 v40, v43, v42
	v_pk_mul_f32 v[42:43], v[0:1], s[28:29]
	v_add_f32_e32 v50, v40, v44
	v_pk_fma_f32 v[40:41], v[78:79], s[26:27], v[42:43] neg_lo:[1,0,0] neg_hi:[1,0,0]
	v_pk_fma_f32 v[42:43], v[78:79], s[26:27], v[42:43]
	s_mov_b32 s24, 0xbf1a4643
	v_add_f32_e32 v43, v43, v6
	s_mov_b32 s31, 0xbf65296c
	v_add_f32_e32 v52, v42, v43
	s_mov_b32 s25, 0x3ee437d1
	v_pk_mul_f32 v[42:43], v[78:79], s[30:31]
	v_pk_add_f32 v[92:93], v[12:13], v[16:17] neg_lo:[0,1] neg_hi:[0,1]
	v_pk_fma_f32 v[44:45], v[0:1], s[24:25], v[42:43]
	v_mov_b32_e32 v46, v93
	v_add_f32_e32 v45, v45, v6
	v_add_f32_e32 v53, v44, v45
	v_pk_add_f32 v[44:45], v[32:33], v[34:35]
	s_mov_b32 s0, s31
	v_mov_b32_e32 v47, v45
	s_mov_b32 s1, s25
	v_pk_mul_f32 v[48:49], v[46:47], s[0:1]
	s_mov_b32 s44, s26
	v_mov_b32_e32 v51, v48
	v_pk_fma_f32 v[68:69], v[46:47], s[0:1], v[50:51]
	v_sub_f32_e32 v46, v49, v48
	v_add_f32_e32 v50, v46, v50
	v_mov_b32_e32 v46, v92
	v_mov_b32_e32 v47, v44
	s_mov_b32 s45, s28
	v_pk_mul_f32 v[48:49], v[46:47], s[44:45]
	s_mov_b32 s14, 0xbf7ba420
	v_mov_b32_e32 v51, v48
	s_mov_b32 s15, s24
	s_mov_b32 s12, 0xbe3c28d5
	v_pk_fma_f32 v[70:71], v[46:47], s[44:45], v[50:51]
	v_sub_f32_e32 v46, v49, v48
	v_pk_mul_f32 v[48:49], v[44:45], s[14:15]
	s_mov_b32 s13, s30
	v_add_f32_e32 v56, v46, v50
	v_pk_fma_f32 v[46:47], v[92:93], s[12:13], v[48:49] neg_lo:[1,0,0] neg_hi:[1,0,0]
	v_pk_fma_f32 v[48:49], v[92:93], s[12:13], v[48:49]
	s_mov_b32 s42, 0x3e3c28d5
	v_add_f32_e32 v49, v49, v52
	s_mov_b32 s35, 0xbe8c1d8e
	s_mov_b32 s36, 0x3f763a35
	;; [unrolled: 1-line block ×3, first 2 shown]
	v_add_f32_e32 v58, v48, v49
	s_mov_b32 s0, s35
	s_mov_b32 s1, s14
	v_pk_mul_f32 v[48:49], v[92:93], s[36:37]
	v_pk_add_f32 v[100:101], v[20:21], v[14:15] neg_lo:[0,1] neg_hi:[0,1]
	v_pk_fma_f32 v[50:51], v[44:45], s[0:1], v[48:49]
	s_mov_b32 s39, 0xbf763a35
	v_add_f32_e32 v51, v51, v53
	v_pk_add_f32 v[52:53], v[28:29], v[30:31]
	v_add_f32_e32 v59, v50, v51
	v_mov_b32_e32 v50, v101
	v_mov_b32_e32 v51, v53
	s_mov_b32 s34, s39
	v_pk_mul_f32 v[54:55], v[50:51], s[34:35]
	v_pk_fma_f32 v[48:49], v[44:45], s[0:1], v[48:49] neg_lo:[0,0,1] neg_hi:[0,0,1]
	v_mov_b32_e32 v57, v54
	v_pk_fma_f32 v[72:73], v[50:51], s[34:35], v[56:57]
	v_sub_f32_e32 v50, v55, v54
	v_add_f32_e32 v56, v50, v56
	v_mov_b32_e32 v50, v100
	v_mov_b32_e32 v51, v52
	s_mov_b32 s0, s30
	s_mov_b32 s1, s24
	v_pk_mul_f32 v[54:55], v[50:51], s[0:1]
	s_mov_b32 s21, 0xbf59a7d5
	v_mov_b32_e32 v57, v54
	s_mov_b32 s20, s35
	s_mov_b32 s13, 0x3f06c442
	;; [unrolled: 1-line block ×3, first 2 shown]
	v_pk_fma_f32 v[74:75], v[50:51], s[0:1], v[56:57]
	v_sub_f32_e32 v50, v55, v54
	v_pk_mul_f32 v[102:103], v[52:53], s[20:21]
	s_mov_b32 s0, s36
	s_mov_b32 s1, s13
	;; [unrolled: 1-line block ×4, first 2 shown]
	v_add_f32_e32 v64, v50, v56
	v_pk_fma_f32 v[50:51], v[100:101], s[0:1], v[102:103]
	s_mov_b32 s40, s11
	v_add_f32_e32 v51, v51, v58
	s_mov_b32 s41, s37
	v_add_f32_e32 v76, v50, v51
	s_mov_b32 s5, s29
	v_pk_mul_f32 v[50:51], v[100:101], s[40:41]
	v_pk_add_f32 v[60:61], v[24:25], v[26:27]
	v_pk_fma_f32 v[54:55], v[52:53], s[4:5], v[50:51]
	v_pk_add_f32 v[104:105], v[10:11], v[8:9] neg_lo:[0,1] neg_hi:[0,1]
	v_add_f32_e32 v55, v55, v59
	s_mov_b32 s22, 0xbf06c442
	v_add_f32_e32 v77, v54, v55
	v_mov_b32_e32 v54, v105
	v_mov_b32_e32 v55, v61
	s_mov_b32 s23, s21
	v_pk_mul_f32 v[56:57], v[54:55], s[22:23]
	v_mul_f32_e32 v63, 0x3f6eb680, v1
	v_mov_b32_e32 v59, v56
	v_sub_f32_e32 v56, v57, v56
	v_add_f32_e32 v64, v56, v64
	v_pk_mul_f32 v[56:57], v[54:55], s[44:45]
	v_pk_fma_f32 v[106:107], v[54:55], s[22:23], v[58:59]
	v_mov_b32_e32 v59, v56
	v_mov_b32_e32 v56, v57
	v_pk_fma_f32 v[108:109], v[54:55], s[44:45], v[58:59]
	v_pk_fma_f32 v[54:55], v[54:55], s[44:45], v[56:57] neg_lo:[1,0,0] neg_hi:[1,0,0]
	v_mov_b32_e32 v56, v104
	v_mov_b32_e32 v57, v60
	s_mov_b32 s44, s12
	s_mov_b32 s45, s14
	v_pk_mul_f32 v[58:59], v[56:57], s[44:45]
	v_mov_b32_e32 v66, v27
	v_mov_b32_e32 v55, v58
	v_pk_fma_f32 v[110:111], v[56:57], s[44:45], v[54:55]
	v_sub_f32_e32 v55, v59, v58
	v_mov_b32_e32 v58, v60
	v_mov_b32_e32 v59, v104
	s_mov_b32 s44, s21
	s_mov_b32 s45, s22
	v_pk_mul_f32 v[118:119], v[58:59], s[44:45]
	v_add_f32_e32 v91, v55, v64
	v_mov_b32_e32 v64, v119
	v_pk_fma_f32 v[58:59], v[58:59], s[44:45], v[64:65] neg_lo:[0,0,1] neg_hi:[0,0,1]
	v_mov_b32_e32 v64, v24
	v_pk_add_f32 v[62:63], v[64:65], v[62:63]
	v_mov_b32_e32 v64, v26
	v_mov_b32_e32 v65, v6
	v_pk_add_f32 v[62:63], v[64:65], v[62:63]
	v_mov_b32_e32 v68, v30
	v_pk_add_f32 v[62:63], v[66:67], v[62:63]
	v_mov_b32_e32 v70, v31
	v_pk_add_f32 v[62:63], v[68:69], v[62:63]
	s_mov_b32 s41, 0x3f65296c
	v_pk_add_f32 v[62:63], v[70:71], v[62:63]
	v_mov_b32_e32 v72, v34
	s_mov_b32 s18, 0x3eb8f4ab
	s_mov_b32 s19, s41
	v_pk_add_f32 v[62:63], v[72:73], v[62:63]
	v_mov_b32_e32 v74, v35
	v_pk_fma_f32 v[50:51], v[52:53], s[4:5], v[50:51] neg_lo:[0,0,1] neg_hi:[0,0,1]
	s_mov_b32 s5, s25
	v_pk_mul_f32 v[114:115], v[104:105], s[18:19]
	v_pk_add_f32 v[62:63], v[74:75], v[62:63]
	v_mov_b32_e32 v106, v38
	v_pk_mul_f32 v[112:113], v[60:61], s[4:5]
	v_pk_fma_f32 v[116:117], v[60:61], s[4:5], v[114:115]
	s_movk_i32 s19, 0x44
	v_pk_add_f32 v[62:63], v[106:107], v[62:63]
	v_mov_b32_e32 v110, v39
	v_pk_fma_f32 v[56:57], v[60:61], s[4:5], v[114:115] neg_lo:[0,0,1] neg_hi:[0,0,1]
	v_mad_u32_u24 v95, v81, s19, 0
	v_pk_add_f32 v[62:63], v[110:111], v[62:63]
	v_mov_b32_e32 v115, v109
	v_mov_b32_e32 v113, v77
	v_mov_b32_e32 v64, v117
	v_mov_b32_e32 v65, v119
	v_mov_b32_e32 v77, v118
	ds_write2_b32 v95, v62, v63 offset1:1
	v_pk_add_f32 v[62:63], v[114:115], v[112:113]
	v_pk_add_f32 v[64:65], v[64:65], v[76:77]
	s_mov_b32 s38, s26
	v_pk_add_f32 v[62:63], v[64:65], v[62:63]
	ds_write2_b32 v95, v62, v63 offset0:2 offset1:3
	s_mov_b32 s34, s28
	v_pk_mul_f32 v[62:63], v[78:79], s[38:39] op_sel:[1,0]
	s_mov_b32 s20, s14
	v_pk_fma_f32 v[64:65], v[0:1], s[34:35], v[62:63] op_sel:[1,0,0]
	s_mov_b32 s44, s35
	v_pk_add_f32 v[66:67], v[64:65], v[6:7] op_sel_hi:[1,0]
	v_pk_mul_f32 v[64:65], v[78:79], s[12:13] op_sel_hi:[0,1]
	v_pk_fma_f32 v[68:69], v[0:1], s[20:21], v[64:65] op_sel_hi:[0,1,1]
	v_pk_add_f32 v[68:69], v[68:69], v[66:67]
	s_mov_b32 s45, s29
	v_pk_mul_f32 v[66:67], v[92:93], s[36:37] op_sel:[1,0]
	s_mov_b32 s19, s31
	v_pk_fma_f32 v[70:71], v[44:45], s[44:45], v[66:67] op_sel:[1,0,0]
	s_mov_b32 s54, s31
	v_pk_add_f32 v[70:71], v[70:71], v[68:69]
	v_pk_mul_f32 v[68:69], v[92:93], s[18:19] op_sel_hi:[0,1]
	v_pk_fma_f32 v[72:73], v[44:45], s[4:5], v[68:69] op_sel_hi:[0,1,1]
	s_mov_b32 s55, s12
	v_pk_add_f32 v[72:73], v[72:73], v[70:71]
	s_mov_b32 s46, s25
	s_mov_b32 s47, s14
	v_pk_mul_f32 v[70:71], v[100:101], s[54:55] op_sel:[1,0]
	s_mov_b32 s23, 0x3f7ee86f
	v_pk_fma_f32 v[74:75], v[52:53], s[46:47], v[70:71] op_sel:[1,0,0]
	s_mov_b32 s48, s21
	v_pk_add_f32 v[74:75], v[74:75], v[72:73]
	s_mov_b32 s49, s28
	v_pk_mul_f32 v[72:73], v[100:101], s[22:23] op_sel_hi:[0,1]
	v_pk_fma_f32 v[76:77], v[52:53], s[48:49], v[72:73] op_sel_hi:[0,1,1]
	v_pk_add_f32 v[76:77], v[76:77], v[74:75]
	s_mov_b32 s50, s24
	s_mov_b32 s51, s4
	v_pk_mul_f32 v[74:75], v[104:105], s[10:11] op_sel:[1,0]
	s_mov_b32 s56, s37
	v_pk_fma_f32 v[106:107], v[60:61], s[50:51], v[74:75] op_sel:[1,0,0]
	s_mov_b32 s57, s30
	v_pk_add_f32 v[106:107], v[106:107], v[76:77]
	s_mov_b32 s52, s29
	s_mov_b32 s53, s24
	v_pk_mul_f32 v[76:77], v[104:105], s[56:57] op_sel_hi:[0,1]
	v_pk_fma_f32 v[108:109], v[60:61], s[52:53], v[76:77] op_sel_hi:[0,1,1]
	v_pk_add_f32 v[106:107], v[108:109], v[106:107]
	s_mov_b32 s64, s30
	s_mov_b32 s65, s22
	ds_write2_b32 v95, v106, v107 offset0:4 offset1:5
	s_mov_b32 s58, s24
	s_mov_b32 s59, s21
	v_pk_mul_f32 v[106:107], v[78:79], s[64:65] op_sel:[1,0]
	s_mov_b32 s40, s36
	v_pk_fma_f32 v[108:109], v[0:1], s[58:59], v[106:107] op_sel:[1,0,0]
	s_mov_b32 s60, s35
	s_mov_b32 s61, s25
	v_pk_mul_f32 v[110:111], v[78:79], s[40:41] op_sel_hi:[0,1]
	v_mul_f32_e32 v82, 0xbe3c28d5, v79
	v_mul_f32_e32 v86, 0x3eb8f4ab, v78
	v_pk_add_f32 v[108:109], v[108:109], v[6:7] op_sel_hi:[1,0]
	v_pk_fma_f32 v[78:79], v[0:1], s[60:61], v[110:111] op_sel_hi:[0,1,1]
	s_mov_b32 s72, s11
	s_mov_b32 s73, s26
	v_pk_add_f32 v[78:79], v[78:79], v[108:109]
	s_mov_b32 s62, s4
	s_mov_b32 s63, s28
	v_pk_mul_f32 v[108:109], v[92:93], s[72:73] op_sel:[1,0]
	s_mov_b32 s76, s22
	s_mov_b32 s77, s10
	v_mul_f32_e32 v90, 0xbf06c442, v93
	v_mul_f32_e32 v96, 0x3f2c7751, v92
	v_pk_fma_f32 v[112:113], v[44:45], s[62:63], v[108:109] op_sel:[1,0,0]
	s_mov_b32 s66, s21
	s_mov_b32 s67, s24
	v_pk_mul_f32 v[92:93], v[92:93], s[76:77] op_sel_hi:[0,1]
	v_pk_add_f32 v[78:79], v[112:113], v[78:79]
	v_pk_fma_f32 v[112:113], v[44:45], s[66:67], v[92:93] op_sel_hi:[0,1,1]
	s_mov_b32 s80, s23
	s_mov_b32 s81, s11
	v_pk_add_f32 v[78:79], v[112:113], v[78:79]
	s_mov_b32 s68, s28
	s_mov_b32 s69, s4
	v_pk_mul_f32 v[112:113], v[100:101], s[80:81] op_sel:[1,0]
	s_mov_b32 s82, s27
	v_pk_fma_f32 v[114:115], v[52:53], s[68:69], v[112:113] op_sel:[1,0,0]
	s_mov_b32 s83, s12
	v_pk_add_f32 v[78:79], v[114:115], v[78:79]
	s_mov_b32 s70, s29
	s_mov_b32 s71, s14
	v_pk_mul_f32 v[114:115], v[100:101], s[82:83] op_sel_hi:[0,1]
	v_pk_fma_f32 v[116:117], v[52:53], s[70:71], v[114:115] op_sel_hi:[0,1,1]
	s_mov_b32 s84, s12
	s_mov_b32 s85, s37
	v_pk_add_f32 v[78:79], v[116:117], v[78:79]
	s_mov_b32 s74, s14
	s_mov_b32 s75, s29
	v_pk_mul_f32 v[116:117], v[104:105], s[84:85] op_sel:[1,0]
	s_mov_b32 s86, s41
	v_pk_fma_f32 v[118:119], v[60:61], s[74:75], v[116:117] op_sel:[1,0,0]
	s_mov_b32 s87, s39
	v_pk_add_f32 v[78:79], v[118:119], v[78:79]
	s_mov_b32 s78, s25
	s_mov_b32 s79, s35
	v_pk_mul_f32 v[118:119], v[104:105], s[86:87] op_sel_hi:[0,1]
	v_pk_fma_f32 v[120:121], v[60:61], s[78:79], v[118:119] op_sel_hi:[0,1,1]
	v_mul_f32_e32 v80, 0xbf7ba420, v1
	v_pk_add_f32 v[120:121], v[120:121], v[78:79]
	v_mul_f32_e32 v84, 0x3f6eb680, v0
	v_pk_fma_f32 v[78:79], v[100:101], s[0:1], v[102:103] neg_lo:[1,0,0] neg_hi:[1,0,0]
	ds_write2_b32 v95, v120, v121 offset0:6 offset1:7
	v_pk_add_f32 v[102:103], v[80:81], v[82:83]
	v_pk_add_f32 v[120:121], v[80:81], v[82:83] neg_lo:[0,1] neg_hi:[0,1]
	v_mul_f32_e32 v122, 0xbf4c4adb, v101
	v_mul_f32_e32 v82, 0x3f65296c, v100
	v_mov_b32_e32 v103, v120
	v_pk_add_f32 v[100:101], v[84:85], v[86:87]
	v_pk_add_f32 v[120:121], v[84:85], v[86:87] neg_lo:[0,1] neg_hi:[0,1]
	v_mul_f32_e32 v88, 0xbf59a7d5, v45
	v_mov_b32_e32 v101, v120
	v_pk_add_f32 v[102:103], v[102:103], v[6:7] op_sel_hi:[1,0]
	v_pk_add_f32 v[120:121], v[88:89], v[90:91] neg_lo:[0,1] neg_hi:[0,1]
	v_pk_add_f32 v[100:101], v[100:101], v[102:103]
	v_pk_add_f32 v[102:103], v[88:89], v[90:91]
	v_mul_f32_e32 v94, 0x3f3d2fb0, v44
	v_mov_b32_e32 v103, v120
	v_pk_add_f32 v[100:101], v[102:103], v[100:101]
	v_pk_add_f32 v[102:103], v[94:95], v[96:97]
	v_pk_add_f32 v[96:97], v[94:95], v[96:97] neg_lo:[0,1] neg_hi:[0,1]
	v_mul_f32_e32 v98, 0xbf1a4643, v53
	v_mov_b32_e32 v103, v96
	v_pk_add_f32 v[96:97], v[102:103], v[100:101]
	v_pk_add_f32 v[100:101], v[98:99], v[122:123]
	v_pk_add_f32 v[98:99], v[98:99], v[122:123] neg_lo:[0,1] neg_hi:[0,1]
	;; [unrolled: 5-line block ×3, first 2 shown]
	v_mul_f32_e32 v84, 0xbe8c1d8e, v61
	v_mul_f32_e32 v86, 0xbf763a35, v105
	v_mov_b32_e32 v99, v100
	v_pk_add_f32 v[96:97], v[98:99], v[96:97]
	v_pk_add_f32 v[98:99], v[84:85], v[86:87]
	v_pk_add_f32 v[100:101], v[84:85], v[86:87] neg_lo:[0,1] neg_hi:[0,1]
	v_mul_f32_e32 v88, 0x3dbcf732, v60
	v_mul_f32_e32 v90, 0x3f7ee86f, v104
	v_mov_b32_e32 v99, v100
	v_pk_add_f32 v[96:97], v[98:99], v[96:97]
	v_pk_add_f32 v[98:99], v[88:89], v[90:91]
	v_pk_add_f32 v[100:101], v[88:89], v[90:91] neg_lo:[0,1] neg_hi:[0,1]
	v_pk_fma_f32 v[62:63], v[0:1], s[34:35], v[62:63] op_sel:[1,0,0] neg_lo:[0,0,1] neg_hi:[0,0,1]
	v_mov_b32_e32 v99, v100
	v_pk_add_f32 v[96:97], v[98:99], v[96:97]
	v_pk_fma_f32 v[42:43], v[0:1], s[24:25], v[42:43] neg_lo:[0,0,1] neg_hi:[0,0,1]
	ds_write2_b32 v95, v96, v97 offset0:8 offset1:9
	v_pk_fma_f32 v[96:97], v[0:1], s[58:59], v[106:107] op_sel:[1,0,0] neg_lo:[0,0,1] neg_hi:[0,0,1]
	v_pk_fma_f32 v[98:99], v[0:1], s[60:61], v[110:111] op_sel_hi:[0,1,1] neg_lo:[0,0,1] neg_hi:[0,0,1]
	v_pk_add_f32 v[62:63], v[62:63], v[6:7] op_sel_hi:[1,0]
	v_pk_fma_f32 v[0:1], v[0:1], s[20:21], v[64:65] op_sel_hi:[0,1,1] neg_lo:[0,0,1] neg_hi:[0,0,1]
	v_pk_add_f32 v[96:97], v[96:97], v[6:7] op_sel_hi:[1,0]
	v_pk_add_f32 v[0:1], v[0:1], v[62:63]
	v_pk_fma_f32 v[62:63], v[44:45], s[44:45], v[66:67] op_sel:[1,0,0] neg_lo:[0,0,1] neg_hi:[0,0,1]
	v_pk_add_f32 v[96:97], v[98:99], v[96:97]
	v_pk_fma_f32 v[98:99], v[44:45], s[62:63], v[108:109] op_sel:[1,0,0] neg_lo:[0,0,1] neg_hi:[0,0,1]
	v_pk_fma_f32 v[92:93], v[44:45], s[66:67], v[92:93] op_sel_hi:[0,1,1] neg_lo:[0,0,1] neg_hi:[0,0,1]
	v_pk_add_f32 v[0:1], v[62:63], v[0:1]
	v_pk_fma_f32 v[44:45], v[44:45], s[4:5], v[68:69] op_sel_hi:[0,1,1] neg_lo:[0,0,1] neg_hi:[0,0,1]
	v_pk_add_f32 v[0:1], v[44:45], v[0:1]
	v_pk_fma_f32 v[44:45], v[52:53], s[46:47], v[70:71] op_sel:[1,0,0] neg_lo:[0,0,1] neg_hi:[0,0,1]
	v_pk_add_f32 v[96:97], v[98:99], v[96:97]
	v_pk_add_f32 v[0:1], v[44:45], v[0:1]
	v_pk_fma_f32 v[44:45], v[52:53], s[48:49], v[72:73] op_sel_hi:[0,1,1] neg_lo:[0,0,1] neg_hi:[0,0,1]
	v_pk_add_f32 v[0:1], v[44:45], v[0:1]
	v_pk_fma_f32 v[44:45], v[60:61], s[50:51], v[74:75] op_sel:[1,0,0] neg_lo:[0,0,1] neg_hi:[0,0,1]
	v_pk_add_f32 v[92:93], v[92:93], v[96:97]
	v_pk_add_f32 v[0:1], v[44:45], v[0:1]
	v_pk_fma_f32 v[44:45], v[60:61], s[52:53], v[76:77] op_sel_hi:[0,1,1] neg_lo:[0,0,1] neg_hi:[0,0,1]
	v_pk_add_f32 v[0:1], v[44:45], v[0:1]
	ds_write2_b32 v95, v1, v0 offset0:12 offset1:13
	v_mov_b32_e32 v0, v43
	v_mov_b32_e32 v1, v41
	v_pk_add_f32 v[0:1], v[0:1], v[6:7] op_sel_hi:[1,0]
	v_mov_b32_e32 v43, v40
	v_pk_add_f32 v[0:1], v[42:43], v[0:1]
	v_mov_b32_e32 v40, v49
	v_mov_b32_e32 v41, v47
	v_pk_add_f32 v[0:1], v[40:41], v[0:1]
	v_mov_b32_e32 v49, v46
	v_pk_fma_f32 v[96:97], v[52:53], s[68:69], v[112:113] op_sel:[1,0,0] neg_lo:[0,0,1] neg_hi:[0,0,1]
	v_pk_add_f32 v[0:1], v[48:49], v[0:1]
	v_mov_b32_e32 v40, v51
	v_mov_b32_e32 v41, v79
	v_pk_add_f32 v[92:93], v[96:97], v[92:93]
	v_pk_fma_f32 v[96:97], v[52:53], s[70:71], v[114:115] op_sel_hi:[0,1,1] neg_lo:[0,0,1] neg_hi:[0,0,1]
	v_pk_add_f32 v[0:1], v[40:41], v[0:1]
	v_mov_b32_e32 v51, v78
	v_pk_add_f32 v[92:93], v[96:97], v[92:93]
	v_pk_fma_f32 v[96:97], v[60:61], s[74:75], v[116:117] op_sel:[1,0,0] neg_lo:[0,0,1] neg_hi:[0,0,1]
	v_pk_add_f32 v[0:1], v[50:51], v[0:1]
	v_mov_b32_e32 v55, v57
	v_pk_add_f32 v[92:93], v[96:97], v[92:93]
	v_pk_fma_f32 v[96:97], v[60:61], s[78:79], v[118:119] op_sel_hi:[0,1,1] neg_lo:[0,0,1] neg_hi:[0,0,1]
	v_pk_add_f32 v[0:1], v[54:55], v[0:1]
	v_mov_b32_e32 v59, v56
	v_pk_add_f32 v[92:93], v[96:97], v[92:93]
	v_pk_add_f32 v[0:1], v[58:59], v[0:1]
	s_load_dwordx2 s[2:3], s[2:3], 0x0
	ds_write2_b32 v95, v93, v92 offset0:10 offset1:11
	ds_write2_b32 v95, v0, v1 offset0:14 offset1:15
	ds_write_b32 v95, v91 offset:64
	v_lshlrev_b32_e32 v0, 6, v81
	v_sub_u32_e32 v52, v95, v0
	v_add_u32_e32 v40, 0x400, v52
	v_add_u32_e32 v42, 0xc00, v52
	;; [unrolled: 1-line block ×3, first 2 shown]
	s_waitcnt lgkmcnt(0)
	s_barrier
	ds_read2_b32 v[46:47], v40 offset0:33 offset1:118
	v_add_u32_e32 v40, 0x600, v52
	ds_read2_b32 v[50:51], v42 offset0:99 offset1:184
	v_add_u32_e32 v42, 0x1000, v52
	v_lshl_add_u32 v53, v89, 2, 0
	ds_read2_b32 v[48:49], v44 offset0:151 offset1:236
	v_add_u32_e32 v44, 0x1200, v52
	ds_read2_b32 v[40:41], v40 offset0:75 offset1:194
	ds_read2_b32 v[42:43], v42 offset0:13 offset1:132
	ds_read_b32 v63, v53
	ds_read2_b32 v[44:45], v44 offset0:89 offset1:174
	v_lshl_add_u32 v57, v87, 2, 0
	ds_read_b32 v65, v52
	ds_read_b32 v64, v57
	v_sub_u32_e32 v0, 0, v0
	v_cmp_gt_u32_e64 s[0:1], 34, v81
	v_add_u32_e32 v61, v95, v0
	v_lshl_add_u32 v62, v85, 2, 0
                                        ; implicit-def: $vgpr66
                                        ; implicit-def: $vgpr67
                                        ; implicit-def: $vgpr68
	s_and_saveexec_b64 s[88:89], s[0:1]
	s_cbranch_execz .LBB0_15
; %bb.14:
	ds_read_b32 v91, v61 offset:2176
	ds_read_b32 v68, v61 offset:3332
	;; [unrolled: 1-line block ×3, first 2 shown]
	ds_read_b32 v1, v62
	ds_read_b32 v66, v61 offset:5644
.LBB0_15:
	s_or_b64 exec, exec, s[88:89]
	v_add_f32_e32 v0, v23, v7
	v_add_f32_e32 v0, v22, v0
	v_add_f32_e32 v0, v13, v0
	v_add_f32_e32 v0, v12, v0
	v_mov_b32_e32 v58, v23
	v_mov_b32_e32 v59, v37
	;; [unrolled: 1-line block ×4, first 2 shown]
	v_add_f32_e32 v0, v21, v0
	v_pk_add_f32 v[54:55], v[58:59], v[72:73]
	v_pk_add_f32 v[72:73], v[58:59], v[72:73] neg_lo:[0,1] neg_hi:[0,1]
	v_add_f32_e32 v0, v20, v0
	v_mov_b32_e32 v58, v54
	v_mov_b32_e32 v59, v73
	s_mov_b32 s88, s25
	s_mov_b32 s89, s31
	v_add_f32_e32 v0, v11, v0
	v_pk_mul_f32 v[58:59], v[58:59], s[88:89]
	v_add_f32_e32 v70, v10, v0
	v_sub_f32_e32 v0, v58, v59
	v_add_f32_e32 v39, v0, v7
	v_add_f32_e32 v0, v58, v59
	v_mov_b32_e32 v58, v13
	v_mov_b32_e32 v59, v22
	;; [unrolled: 1-line block ×4, first 2 shown]
	v_pk_add_f32 v[58:59], v[58:59], v[22:23]
	v_mov_b32_e32 v22, v33
	v_mov_b32_e32 v23, v36
	;; [unrolled: 1-line block ×4, first 2 shown]
	v_pk_add_f32 v[74:75], v[22:23], v[36:37] neg_lo:[0,1] neg_hi:[0,1]
	s_mov_b32 s43, s30
	v_pk_mul_f32 v[22:23], v[74:75], s[42:43]
	v_mov_b32_e32 v76, v21
	v_pk_fma_f32 v[36:37], v[58:59], s[14:15], v[22:23] neg_lo:[0,0,1] neg_hi:[0,0,1]
	v_mov_b32_e32 v77, v12
	v_add_f32_e32 v13, v37, v39
	v_add_f32_e32 v35, v36, v13
	v_mov_b32_e32 v12, v15
	v_mov_b32_e32 v13, v16
	v_pk_add_f32 v[76:77], v[76:77], v[12:13]
	v_mov_b32_e32 v12, v29
	v_mov_b32_e32 v13, v32
	;; [unrolled: 1-line block ×4, first 2 shown]
	v_pk_add_f32 v[78:79], v[12:13], v[32:33] neg_lo:[0,1] neg_hi:[0,1]
	s_mov_b32 s88, s37
	s_mov_b32 s89, s36
	v_add_f32_e32 v56, v0, v7
	v_pk_fma_f32 v[22:23], v[58:59], s[14:15], v[22:23]
	s_mov_b32 s42, s29
	s_mov_b32 s43, s35
	v_pk_mul_f32 v[12:13], v[78:79], s[88:89]
	v_add_f32_e32 v23, v23, v56
	v_pk_fma_f32 v[32:33], v[76:77], s[42:43], v[12:13] neg_lo:[0,0,1] neg_hi:[0,0,1]
	v_add_f32_e32 v23, v22, v23
	v_add_f32_e32 v21, v33, v35
	v_pk_fma_f32 v[12:13], v[76:77], s[42:43], v[12:13]
	v_mov_b32_e32 v92, v11
	v_add_f32_e32 v13, v13, v23
	v_add_f32_e32 v23, v32, v21
	v_mov_b32_e32 v93, v20
	v_mov_b32_e32 v20, v9
	;; [unrolled: 1-line block ×3, first 2 shown]
	v_pk_add_f32 v[92:93], v[92:93], v[20:21]
	v_mov_b32_e32 v20, v25
	v_mov_b32_e32 v21, v28
	;; [unrolled: 1-line block ×4, first 2 shown]
	v_pk_add_f32 v[28:29], v[20:21], v[28:29] neg_lo:[0,1] neg_hi:[0,1]
	s_mov_b32 s42, s26
	s_mov_b32 s43, s11
	v_pk_mul_f32 v[20:21], v[28:29], s[42:43]
	s_mov_b32 s42, s29
	s_mov_b32 s43, s4
	;; [unrolled: 1-line block ×4, first 2 shown]
	v_pk_add_f32 v[24:25], v[24:25], v[26:27] neg_lo:[0,1] neg_hi:[0,1]
	v_pk_mul_f32 v[26:27], v[54:55], s[42:43] op_sel_hi:[0,1]
	v_pk_mul_f32 v[96:97], v[72:73], s[88:89] op_sel:[1,0]
	v_pk_mul_f32 v[102:103], v[58:59], s[28:29] op_sel:[1,0]
	;; [unrolled: 1-line block ×3, first 2 shown]
	v_pk_fma_f32 v[30:31], v[92:93], s[68:69], v[20:21] neg_lo:[0,0,1] neg_hi:[0,0,1]
	v_mov_b32_e32 v103, v26
	v_mov_b32_e32 v26, v104
	;; [unrolled: 1-line block ×3, first 2 shown]
	v_add_f32_e32 v13, v12, v13
	v_add_f32_e32 v23, v31, v23
	v_pk_fma_f32 v[20:21], v[92:93], s[68:69], v[20:21]
	v_pk_add_f32 v[26:27], v[102:103], v[26:27] neg_lo:[0,1] neg_hi:[0,1]
	v_add_f32_e32 v13, v21, v13
	v_add_f32_e32 v21, v30, v23
	v_pk_fma_f32 v[100:101], v[54:55], s[42:43], v[96:97] op_sel_hi:[0,1,1]
	v_add_f32_e32 v23, v27, v7
	v_pk_add_f32 v[100:101], v[100:101], v[6:7] op_sel:[0,1]
	v_add_f32_e32 v23, v26, v23
	v_pk_fma_f32 v[26:27], v[58:59], s[28:29], v[104:105] op_sel:[1,0,0]
	v_pk_fma_f32 v[106:107], v[58:59], s[28:29], v[104:105] op_sel:[1,0,0] neg_lo:[0,0,1] neg_hi:[0,0,1]
	v_pk_add_f32 v[26:27], v[26:27], v[100:101]
	v_pk_mul_f32 v[100:101], v[74:75], s[30:31] op_sel_hi:[0,1]
	v_pk_fma_f32 v[104:105], v[58:59], s[24:25], v[100:101] op_sel_hi:[0,1,1]
	s_mov_b32 s15, s28
	s_mov_b32 s28, s12
	;; [unrolled: 1-line block ×3, first 2 shown]
	v_pk_fma_f32 v[98:99], v[54:55], s[42:43], v[96:97] op_sel_hi:[0,1,1] neg_lo:[0,0,1] neg_hi:[0,0,1]
	v_pk_mul_f32 v[96:97], v[58:59], s[24:25] op_sel_hi:[0,1]
	v_pk_add_f32 v[26:27], v[104:105], v[26:27]
	v_pk_mul_f32 v[104:105], v[76:77], s[14:15] op_sel:[1,0]
	v_pk_mul_f32 v[108:109], v[78:79], s[28:29] op_sel:[1,0]
	v_mov_b32_e32 v105, v96
	v_mov_b32_e32 v96, v108
	;; [unrolled: 1-line block ×3, first 2 shown]
	v_pk_add_f32 v[96:97], v[104:105], v[96:97] neg_lo:[0,1] neg_hi:[0,1]
	s_mov_b32 s28, s13
	v_add_f32_e32 v23, v97, v23
	s_mov_b32 s29, s39
	v_pk_fma_f32 v[102:103], v[58:59], s[24:25], v[100:101] op_sel_hi:[0,1,1] neg_lo:[0,0,1] neg_hi:[0,0,1]
	v_add_f32_e32 v23, v96, v23
	v_pk_fma_f32 v[96:97], v[76:77], s[14:15], v[108:109] op_sel:[1,0,0]
	s_mov_b32 s26, s21
	s_mov_b32 s27, s35
	v_pk_mul_f32 v[100:101], v[78:79], s[28:29] op_sel_hi:[0,1]
	v_pk_fma_f32 v[110:111], v[76:77], s[14:15], v[108:109] op_sel:[1,0,0] neg_lo:[0,0,1] neg_hi:[0,0,1]
	v_pk_add_f32 v[26:27], v[96:97], v[26:27]
	v_pk_mul_f32 v[96:97], v[76:77], s[26:27] op_sel_hi:[0,1]
	v_pk_fma_f32 v[104:105], v[76:77], s[26:27], v[100:101] op_sel_hi:[0,1,1] neg_lo:[0,0,1] neg_hi:[0,0,1]
	v_pk_fma_f32 v[108:109], v[76:77], s[26:27], v[100:101] op_sel_hi:[0,1,1]
	s_mov_b32 s26, s35
	s_mov_b32 s27, s24
	;; [unrolled: 1-line block ×4, first 2 shown]
	v_pk_add_f32 v[26:27], v[108:109], v[26:27]
	v_pk_mul_f32 v[108:109], v[92:93], s[26:27] op_sel:[1,0]
	v_pk_mul_f32 v[112:113], v[28:29], s[28:29] op_sel:[1,0]
	v_mov_b32_e32 v109, v96
	v_pk_fma_f32 v[114:115], v[92:93], s[26:27], v[112:113] op_sel:[1,0,0] neg_lo:[0,0,1] neg_hi:[0,0,1]
	v_mov_b32_e32 v96, v112
	v_mov_b32_e32 v97, v100
	v_pk_fma_f32 v[100:101], v[92:93], s[26:27], v[112:113] op_sel:[1,0,0]
	v_mov_b32_e32 v112, v8
	v_mov_b32_e32 v113, v7
	;; [unrolled: 1-line block ×3, first 2 shown]
	v_pk_add_f32 v[70:71], v[112:113], v[70:71]
	v_mov_b32_e32 v106, v9
	v_pk_add_f32 v[10:11], v[10:11], v[8:9]
	v_pk_add_f32 v[8:9], v[106:107], v[70:71]
	v_mov_b32_e32 v102, v14
	s_mov_b32 s26, s41
	s_mov_b32 s27, s22
	v_pk_add_f32 v[8:9], v[102:103], v[8:9]
	v_mov_b32_e32 v110, v15
	v_pk_add_f32 v[26:27], v[100:101], v[26:27]
	s_mov_b32 s24, s25
	s_mov_b32 s25, s21
	v_pk_mul_f32 v[100:101], v[28:29], s[26:27] op_sel_hi:[0,1]
	v_pk_add_f32 v[8:9], v[110:111], v[8:9]
	v_mov_b32_e32 v104, v16
	v_pk_add_f32 v[96:97], v[108:109], v[96:97] neg_lo:[0,1] neg_hi:[0,1]
	v_pk_fma_f32 v[108:109], v[92:93], s[24:25], v[100:101] op_sel_hi:[0,1,1] neg_lo:[0,0,1] neg_hi:[0,0,1]
	v_pk_add_f32 v[8:9], v[104:105], v[8:9]
	v_mov_b32_e32 v114, v17
	v_pk_add_f32 v[8:9], v[114:115], v[8:9]
	v_mov_b32_e32 v14, v18
	v_mov_b32_e32 v15, v109
	v_pk_add_f32 v[8:9], v[14:15], v[8:9]
	v_pk_fma_f32 v[14:15], v[92:93], s[24:25], v[100:101] op_sel_hi:[0,1,1]
	s_mov_b32 s25, s14
	s_mov_b32 s14, s18
	;; [unrolled: 1-line block ×4, first 2 shown]
	v_pk_mul_f32 v[16:17], v[24:25], s[14:15] op_sel_hi:[0,1]
	v_pk_add_f32 v[14:15], v[14:15], v[26:27]
	v_pk_fma_f32 v[26:27], v[10:11], s[24:25], v[16:17] op_sel_hi:[0,1,1] neg_lo:[0,0,1] neg_hi:[0,0,1]
	v_mov_b32_e32 v18, v19
	v_mov_b32_e32 v19, v27
	v_add_f32_e32 v23, v97, v23
	v_pk_add_f32 v[18:19], v[18:19], v[8:9]
	v_pk_fma_f32 v[8:9], v[10:11], s[24:25], v[16:17] op_sel_hi:[0,1,1]
	v_add_f32_e32 v96, v96, v23
	v_pk_add_f32 v[8:9], v[8:9], v[14:15]
	v_mul_f32_e32 v97, 0xbf59a7d5, v10
	v_mul_f32_e32 v15, 0xbf06c442, v24
	v_mov_b32_e32 v14, v108
	v_add_f32_e32 v13, v20, v13
	v_pk_add_f32 v[16:17], v[96:97], v[108:109]
	v_pk_add_f32 v[70:71], v[96:97], v[14:15] neg_lo:[0,1] neg_hi:[0,1]
	v_fmac_f32_e32 v15, 0xbf59a7d5, v10
	v_mov_b32_e32 v17, v71
	v_mov_b32_e32 v27, v21
	v_add_f32_e32 v31, v15, v13
	v_pk_mul_f32 v[14:15], v[72:73], s[38:39] op_sel:[1,0]
	v_pk_add_f32 v[16:17], v[16:17], v[26:27]
	v_pk_fma_f32 v[26:27], v[54:55], s[34:35], v[14:15] op_sel_hi:[0,1,1] neg_lo:[0,0,1] neg_hi:[0,0,1]
	v_pk_mul_f32 v[70:71], v[74:75], s[12:13] op_sel:[1,0]
	v_pk_add_f32 v[26:27], v[26:27], v[6:7] op_sel:[0,1]
	v_pk_fma_f32 v[96:97], v[58:59], s[20:21], v[70:71] op_sel:[1,0,0] neg_lo:[0,0,1] neg_hi:[0,0,1]
	v_pk_fma_f32 v[14:15], v[54:55], s[34:35], v[14:15] op_sel_hi:[0,1,1]
	v_pk_add_f32 v[26:27], v[96:97], v[26:27]
	v_pk_mul_f32 v[96:97], v[74:75], s[36:37] op_sel_hi:[0,1]
	v_pk_fma_f32 v[98:99], v[58:59], s[44:45], v[96:97] op_sel_hi:[0,1,1] neg_lo:[0,0,1] neg_hi:[0,0,1]
	v_pk_add_f32 v[26:27], v[98:99], v[26:27]
	v_pk_mul_f32 v[98:99], v[78:79], s[18:19] op_sel:[1,0]
	v_pk_add_f32 v[14:15], v[14:15], v[6:7] op_sel:[0,1]
	v_pk_fma_f32 v[100:101], v[76:77], s[4:5], v[98:99] op_sel:[1,0,0] neg_lo:[0,0,1] neg_hi:[0,0,1]
	v_pk_fma_f32 v[70:71], v[58:59], s[20:21], v[70:71] op_sel:[1,0,0]
	v_pk_add_f32 v[26:27], v[100:101], v[26:27]
	v_pk_mul_f32 v[100:101], v[78:79], s[54:55] op_sel_hi:[0,1]
	v_pk_fma_f32 v[102:103], v[76:77], s[46:47], v[100:101] op_sel_hi:[0,1,1] neg_lo:[0,0,1] neg_hi:[0,0,1]
	v_pk_add_f32 v[26:27], v[102:103], v[26:27]
	v_pk_mul_f32 v[102:103], v[28:29], s[22:23] op_sel:[1,0]
	v_pk_add_f32 v[14:15], v[70:71], v[14:15]
	v_pk_fma_f32 v[70:71], v[58:59], s[44:45], v[96:97] op_sel_hi:[0,1,1]
	v_pk_fma_f32 v[104:105], v[92:93], s[48:49], v[102:103] op_sel:[1,0,0] neg_lo:[0,0,1] neg_hi:[0,0,1]
	v_pk_add_f32 v[14:15], v[70:71], v[14:15]
	v_pk_fma_f32 v[70:71], v[76:77], s[4:5], v[98:99] op_sel:[1,0,0]
	v_pk_add_f32 v[26:27], v[104:105], v[26:27]
	v_pk_mul_f32 v[104:105], v[28:29], s[10:11] op_sel_hi:[0,1]
	v_pk_add_f32 v[14:15], v[70:71], v[14:15]
	v_pk_fma_f32 v[70:71], v[76:77], s[46:47], v[100:101] op_sel_hi:[0,1,1]
	v_pk_fma_f32 v[106:107], v[92:93], s[50:51], v[104:105] op_sel_hi:[0,1,1] neg_lo:[0,0,1] neg_hi:[0,0,1]
	v_pk_add_f32 v[14:15], v[70:71], v[14:15]
	v_pk_fma_f32 v[70:71], v[92:93], s[48:49], v[102:103] op_sel:[1,0,0]
	v_pk_add_f32 v[26:27], v[106:107], v[26:27]
	v_pk_mul_f32 v[106:107], v[24:25], s[56:57] op_sel_hi:[0,1]
	v_pk_add_f32 v[14:15], v[70:71], v[14:15]
	v_pk_fma_f32 v[70:71], v[92:93], s[50:51], v[104:105] op_sel_hi:[0,1,1]
	v_pk_add_f32 v[14:15], v[70:71], v[14:15]
	v_pk_fma_f32 v[70:71], v[10:11], s[52:53], v[106:107] op_sel_hi:[0,1,1]
	v_pk_add_f32 v[14:15], v[70:71], v[14:15]
	v_pk_mul_f32 v[70:71], v[72:73], s[64:65] op_sel:[1,0]
	v_mul_f32_e32 v52, 0xbe3c28d5, v73
	v_pk_fma_f32 v[72:73], v[54:55], s[58:59], v[70:71] op_sel_hi:[0,1,1] neg_lo:[0,0,1] neg_hi:[0,0,1]
	v_pk_mul_f32 v[96:97], v[74:75], s[40:41] op_sel:[1,0]
	v_mul_f32_e32 v56, 0x3eb8f4ab, v75
	v_mul_f32_e32 v36, 0xbf06c442, v74
	v_pk_add_f32 v[72:73], v[72:73], v[6:7] op_sel:[0,1]
	v_pk_fma_f32 v[98:99], v[58:59], s[60:61], v[96:97] op_sel:[1,0,0] neg_lo:[0,0,1] neg_hi:[0,0,1]
	v_pk_mul_f32 v[74:75], v[74:75], s[72:73] op_sel_hi:[0,1]
	v_pk_add_f32 v[72:73], v[98:99], v[72:73]
	v_pk_fma_f32 v[98:99], v[58:59], s[62:63], v[74:75] op_sel_hi:[0,1,1] neg_lo:[0,0,1] neg_hi:[0,0,1]
	v_mul_f32_e32 v0, 0xbf7ba420, v54
	v_pk_add_f32 v[72:73], v[98:99], v[72:73]
	v_pk_mul_f32 v[98:99], v[78:79], s[76:77] op_sel:[1,0]
	v_pk_fma_f32 v[54:55], v[54:55], s[58:59], v[70:71] op_sel_hi:[0,1,1]
	v_mul_f32_e32 v60, 0x3f2c7751, v79
	v_mul_f32_e32 v32, 0xbf4c4adb, v78
	v_pk_fma_f32 v[100:101], v[76:77], s[66:67], v[98:99] op_sel:[1,0,0] neg_lo:[0,0,1] neg_hi:[0,0,1]
	v_pk_mul_f32 v[78:79], v[78:79], s[80:81] op_sel_hi:[0,1]
	v_pk_add_f32 v[54:55], v[54:55], v[6:7] op_sel:[0,1]
	v_pk_fma_f32 v[70:71], v[58:59], s[60:61], v[96:97] op_sel:[1,0,0]
	v_mul_f32_e32 v38, 0x3f6eb680, v59
	v_mul_f32_e32 v22, 0xbf59a7d5, v58
	v_pk_add_f32 v[72:73], v[100:101], v[72:73]
	v_pk_fma_f32 v[100:101], v[76:77], s[68:69], v[78:79] op_sel_hi:[0,1,1] neg_lo:[0,0,1] neg_hi:[0,0,1]
	v_pk_add_f32 v[54:55], v[70:71], v[54:55]
	v_pk_fma_f32 v[58:59], v[58:59], s[62:63], v[74:75] op_sel_hi:[0,1,1]
	v_pk_add_f32 v[72:73], v[100:101], v[72:73]
	v_pk_mul_f32 v[100:101], v[28:29], s[82:83] op_sel:[1,0]
	v_pk_add_f32 v[54:55], v[58:59], v[54:55]
	v_pk_fma_f32 v[58:59], v[76:77], s[66:67], v[98:99] op_sel:[1,0,0]
	v_mul_f32_e32 v82, 0x3f65296c, v29
	v_mul_f32_e32 v30, 0xbf763a35, v28
	v_pk_fma_f32 v[102:103], v[92:93], s[70:71], v[100:101] op_sel:[1,0,0] neg_lo:[0,0,1] neg_hi:[0,0,1]
	v_pk_mul_f32 v[28:29], v[28:29], s[84:85] op_sel_hi:[0,1]
	v_pk_add_f32 v[54:55], v[58:59], v[54:55]
	v_pk_fma_f32 v[58:59], v[76:77], s[68:69], v[78:79] op_sel_hi:[0,1,1]
	v_pk_add_f32 v[72:73], v[102:103], v[72:73]
	v_pk_fma_f32 v[102:103], v[92:93], s[74:75], v[28:29] op_sel_hi:[0,1,1] neg_lo:[0,0,1] neg_hi:[0,0,1]
	v_pk_add_f32 v[54:55], v[58:59], v[54:55]
	v_pk_fma_f32 v[58:59], v[92:93], s[70:71], v[100:101] op_sel:[1,0,0]
	v_pk_add_f32 v[72:73], v[102:103], v[72:73]
	v_pk_mul_f32 v[102:103], v[24:25], s[86:87] op_sel_hi:[0,1]
	v_pk_add_f32 v[54:55], v[58:59], v[54:55]
	v_pk_fma_f32 v[28:29], v[92:93], s[74:75], v[28:29] op_sel_hi:[0,1,1]
	v_pk_add_f32 v[28:29], v[28:29], v[54:55]
	v_pk_fma_f32 v[54:55], v[10:11], s[78:79], v[102:103] op_sel_hi:[0,1,1]
	v_pk_add_f32 v[28:29], v[54:55], v[28:29]
	s_waitcnt lgkmcnt(1)
	v_pk_add_f32 v[54:55], v[0:1], v[52:53] neg_lo:[0,1] neg_hi:[0,1]
	v_pk_add_f32 v[58:59], v[0:1], v[52:53]
	v_mul_f32_e32 v34, 0x3f3d2fb0, v77
	v_mov_b32_e32 v55, v58
	v_pk_add_f32 v[6:7], v[54:55], v[6:7] op_sel:[0,1]
	v_pk_add_f32 v[54:55], v[38:39], v[56:57] neg_lo:[0,1] neg_hi:[0,1]
	v_pk_add_f32 v[38:39], v[38:39], v[56:57]
	v_mul_f32_e32 v12, 0xbf1a4643, v76
	v_mov_b32_e32 v55, v38
	v_pk_add_f32 v[38:39], v[22:23], v[36:37] neg_lo:[0,1] neg_hi:[0,1]
	v_pk_add_f32 v[22:23], v[22:23], v[36:37]
	v_pk_add_f32 v[6:7], v[54:55], v[6:7]
	v_mov_b32_e32 v39, v22
	v_pk_add_f32 v[22:23], v[34:35], v[60:61] neg_lo:[0,1] neg_hi:[0,1]
	v_pk_add_f32 v[34:35], v[34:35], v[60:61]
	v_pk_add_f32 v[6:7], v[38:39], v[6:7]
	v_mov_b32_e32 v23, v34
	v_pk_add_f32 v[6:7], v[22:23], v[6:7]
	v_pk_add_f32 v[22:23], v[12:13], v[32:33] neg_lo:[0,1] neg_hi:[0,1]
	v_pk_add_f32 v[12:13], v[12:13], v[32:33]
	v_mul_f32_e32 v80, 0x3ee437d1, v93
	v_mov_b32_e32 v23, v12
	v_pk_add_f32 v[6:7], v[22:23], v[6:7]
	v_pk_add_f32 v[12:13], v[80:81], v[82:83] neg_lo:[0,1] neg_hi:[0,1]
	v_pk_add_f32 v[22:23], v[80:81], v[82:83]
	v_mul_f32_e32 v20, 0xbe8c1d8e, v92
	v_mov_b32_e32 v13, v22
	v_pk_add_f32 v[6:7], v[12:13], v[6:7]
	v_pk_add_f32 v[12:13], v[20:21], v[30:31] neg_lo:[0,1] neg_hi:[0,1]
	v_pk_add_f32 v[20:21], v[20:21], v[30:31]
	v_pk_fma_f32 v[108:109], v[10:11], s[52:53], v[106:107] op_sel_hi:[0,1,1] neg_lo:[0,0,1] neg_hi:[0,0,1]
	v_pk_fma_f32 v[104:105], v[10:11], s[78:79], v[102:103] op_sel_hi:[0,1,1] neg_lo:[0,0,1] neg_hi:[0,0,1]
	v_mul_f32_e32 v10, 0x3dbcf732, v10
	v_mul_f32_e32 v24, 0x3f7ee86f, v24
	v_mov_b32_e32 v13, v20
	v_pk_add_f32 v[6:7], v[12:13], v[6:7]
	v_pk_add_f32 v[12:13], v[10:11], v[24:25] neg_lo:[0,1] neg_hi:[0,1]
	v_pk_add_f32 v[10:11], v[10:11], v[24:25]
	v_add_u32_e32 v0, 0x400, v61
	v_mov_b32_e32 v13, v10
	v_pk_add_f32 v[26:27], v[108:109], v[26:27]
	v_pk_add_f32 v[72:73], v[104:105], v[72:73]
	;; [unrolled: 1-line block ×3, first 2 shown]
	s_waitcnt lgkmcnt(0)
	s_barrier
	ds_write2_b32 v95, v18, v19 offset1:1
	ds_write2_b32 v95, v16, v17 offset0:2 offset1:3
	ds_write2_b32 v95, v26, v27 offset0:4 offset1:5
	;; [unrolled: 1-line block ×6, first 2 shown]
	ds_write_b32 v95, v31 offset:56
	ds_write2_b32 v95, v8, v9 offset0:15 offset1:16
	s_waitcnt lgkmcnt(0)
	s_barrier
	ds_read2_b32 v[16:17], v0 offset0:33 offset1:118
	v_add_u32_e32 v0, 0x600, v61
	ds_read2_b32 v[6:7], v0 offset0:75 offset1:194
	v_add_u32_e32 v0, 0xc00, v61
	;; [unrolled: 2-line block ×3, first 2 shown]
	ds_read2_b32 v[10:11], v0 offset0:13 offset1:132
	ds_read_b32 v22, v53
	v_add_u32_e32 v0, 0x800, v61
	ds_read2_b32 v[14:15], v0 offset0:151 offset1:236
	v_add_u32_e32 v0, 0x1200, v61
	ds_read2_b32 v[12:13], v0 offset0:89 offset1:174
	ds_read_b32 v24, v61
	ds_read_b32 v23, v57
                                        ; implicit-def: $vgpr29
                                        ; implicit-def: $vgpr28
                                        ; implicit-def: $vgpr30
	s_and_saveexec_b64 s[4:5], s[0:1]
	s_cbranch_execz .LBB0_17
; %bb.16:
	ds_read_b32 v9, v61 offset:2176
	ds_read_b32 v30, v61 offset:3332
	;; [unrolled: 1-line block ×3, first 2 shown]
	ds_read_b32 v8, v62
	ds_read_b32 v29, v61 offset:5644
.LBB0_17:
	s_or_b64 exec, exec, s[4:5]
	s_movk_i32 s4, 0xf1
	v_mul_lo_u16_sdwa v0, v81, s4 dst_sel:DWORD dst_unused:UNUSED_PAD src0_sel:BYTE_0 src1_sel:DWORD
	v_lshrrev_b16_e32 v37, 12, v0
	v_mul_lo_u16_e32 v0, 17, v37
	v_sub_u16_e32 v0, v81, v0
	v_mov_b32_e32 v20, 5
	v_lshlrev_b32_sdwa v21, v20, v0 dst_sel:DWORD dst_unused:UNUSED_PAD src0_sel:DWORD src1_sel:BYTE_0
	global_load_dwordx4 v[70:73], v21, s[8:9]
	global_load_dwordx4 v[74:77], v21, s[8:9] offset:16
	v_mul_lo_u16_sdwa v21, v89, s4 dst_sel:DWORD dst_unused:UNUSED_PAD src0_sel:BYTE_0 src1_sel:DWORD
	v_lshrrev_b16_e32 v55, 12, v21
	v_mul_lo_u16_e32 v21, 17, v55
	v_sub_u16_e32 v21, v89, v21
	v_lshlrev_b32_sdwa v25, v20, v21 dst_sel:DWORD dst_unused:UNUSED_PAD src0_sel:DWORD src1_sel:BYTE_0
	global_load_dwordx4 v[92:95], v25, s[8:9]
	global_load_dwordx4 v[96:99], v25, s[8:9] offset:16
	v_mul_lo_u16_sdwa v25, v87, s4 dst_sel:DWORD dst_unused:UNUSED_PAD src0_sel:BYTE_0 src1_sel:DWORD
	v_lshrrev_b16_e32 v56, 12, v25
	v_mul_lo_u16_e32 v25, 17, v56
	v_sub_u16_e32 v26, v87, v25
	v_lshlrev_b32_sdwa v20, v20, v26 dst_sel:DWORD dst_unused:UNUSED_PAD src0_sel:DWORD src1_sel:BYTE_0
	s_mov_b32 s4, 0xf0f1
	global_load_dwordx4 v[86:89], v20, s[8:9]
	global_load_dwordx4 v[100:103], v20, s[8:9] offset:16
	v_mul_u32_u24_sdwa v20, v85, s4 dst_sel:DWORD dst_unused:UNUSED_PAD src0_sel:WORD_0 src1_sel:DWORD
	v_lshrrev_b32_e32 v25, 20, v20
	v_mul_lo_u16_e32 v20, 17, v25
	v_sub_u16_e32 v58, v85, v20
	v_lshlrev_b32_e32 v20, 5, v58
	global_load_dwordx4 v[104:107], v20, s[8:9]
	global_load_dwordx4 v[108:111], v20, s[8:9] offset:16
	v_mov_b32_e32 v20, 2
	v_lshlrev_b32_sdwa v59, v20, v0 dst_sel:DWORD dst_unused:UNUSED_PAD src0_sel:DWORD src1_sel:BYTE_0
	v_lshlrev_b32_sdwa v60, v20, v21 dst_sel:DWORD dst_unused:UNUSED_PAD src0_sel:DWORD src1_sel:BYTE_0
	;; [unrolled: 1-line block ×3, first 2 shown]
	v_mul_u32_u24_e32 v37, 0x154, v37
	s_waitcnt lgkmcnt(0)
	s_barrier
	s_waitcnt vmcnt(7)
	v_mul_f32_e32 v39, v7, v73
	s_waitcnt vmcnt(6)
	v_mul_f32_e32 v52, v18, v75
	v_mul_f32_e32 v38, v16, v71
	;; [unrolled: 1-line block ×7, first 2 shown]
	v_fmac_f32_e32 v39, v41, v72
	v_fmac_f32_e32 v52, v50, v74
	s_waitcnt vmcnt(4)
	v_mul_f32_e32 v79, v51, v97
	v_fmac_f32_e32 v38, v46, v70
	v_fma_f32 v46, v16, v70, -v31
	s_waitcnt vmcnt(3)
	v_mul_f32_e32 v84, v49, v89
	v_mul_f32_e32 v20, v15, v89
	v_fma_f32 v41, v7, v72, -v71
	v_fmac_f32_e32 v54, v43, v76
	v_fma_f32 v43, v11, v76, -v75
	v_fma_f32 v7, v15, v88, -v84
	v_add_f32_e32 v15, v39, v52
	v_mul_f32_e32 v35, v19, v97
	v_mul_f32_e32 v36, v12, v99
	v_mul_f32_e32 v0, v6, v87
	v_mul_f32_e32 v82, v40, v87
	s_waitcnt vmcnt(2)
	v_mul_f32_e32 v21, v10, v101
	v_mul_f32_e32 v32, v13, v103
	;; [unrolled: 1-line block ×3, first 2 shown]
	v_fma_f32 v50, v18, v74, -v73
	v_fma_f32 v18, v19, v96, -v79
	v_fma_f32 v15, -0.5, v15, v65
	v_sub_f32_e32 v19, v46, v43
	v_mul_f32_e32 v77, v47, v93
	v_mul_f32_e32 v80, v44, v99
	;; [unrolled: 1-line block ×3, first 2 shown]
	v_fmac_f32_e32 v36, v44, v98
	v_fmac_f32_e32 v0, v40, v86
	;; [unrolled: 1-line block ×4, first 2 shown]
	v_fma_f32 v11, v13, v102, -v87
	s_waitcnt vmcnt(1)
	v_mul_f32_e32 v13, v68, v107
	v_fmamk_f32 v42, v19, 0xbf737871, v15
	v_sub_f32_e32 v40, v41, v50
	v_sub_f32_e32 v44, v38, v39
	;; [unrolled: 1-line block ×3, first 2 shown]
	v_fmac_f32_e32 v15, 0x3f737871, v19
	v_mul_f32_e32 v33, v17, v93
	v_fma_f32 v16, v17, v92, -v77
	v_fma_f32 v17, v30, v106, -v13
	s_waitcnt vmcnt(0)
	v_mul_f32_e32 v13, v67, v109
	v_fmac_f32_e32 v42, 0xbf167918, v40
	v_add_f32_e32 v44, v44, v45
	v_fmac_f32_e32 v15, 0x3f167918, v40
	v_mul_f32_e32 v27, v30, v107
	v_mul_f32_e32 v30, v28, v109
	v_fma_f32 v28, v28, v108, -v13
	v_mul_f32_e32 v13, v66, v111
	v_fmac_f32_e32 v42, 0x3e9e377a, v44
	v_fmac_f32_e32 v15, 0x3e9e377a, v44
	v_add_f32_e32 v44, v38, v54
	v_mul_f32_e32 v34, v14, v95
	v_mul_f32_e32 v31, v29, v111
	v_fma_f32 v29, v29, v110, -v13
	v_add_f32_e32 v13, v65, v38
	v_fmac_f32_e32 v65, -0.5, v44
	v_fmac_f32_e32 v33, v47, v92
	v_fmac_f32_e32 v34, v48, v94
	;; [unrolled: 1-line block ×3, first 2 shown]
	v_fmamk_f32 v44, v40, 0x3f737871, v65
	v_sub_f32_e32 v45, v39, v38
	v_sub_f32_e32 v47, v52, v54
	v_fmac_f32_e32 v65, 0xbf737871, v40
	v_mul_f32_e32 v78, v48, v95
	v_fma_f32 v12, v12, v98, -v80
	v_fmac_f32_e32 v44, 0xbf167918, v19
	v_add_f32_e32 v45, v45, v47
	v_fmac_f32_e32 v65, 0x3f167918, v19
	v_add_f32_e32 v40, v34, v35
	v_fma_f32 v14, v14, v94, -v78
	v_fmac_f32_e32 v44, 0x3e9e377a, v45
	v_fmac_f32_e32 v65, 0x3e9e377a, v45
	v_fma_f32 v45, -0.5, v40, v63
	v_sub_f32_e32 v40, v16, v12
	v_fmac_f32_e32 v20, v49, v88
	v_fmamk_f32 v47, v40, 0xbf737871, v45
	v_sub_f32_e32 v48, v14, v18
	v_sub_f32_e32 v49, v33, v34
	;; [unrolled: 1-line block ×3, first 2 shown]
	v_fmac_f32_e32 v45, 0x3f737871, v40
	v_fmac_f32_e32 v47, 0xbf167918, v48
	v_add_f32_e32 v49, v49, v51
	v_fmac_f32_e32 v45, 0x3f167918, v48
	v_fmac_f32_e32 v47, 0x3e9e377a, v49
	;; [unrolled: 1-line block ×3, first 2 shown]
	v_add_f32_e32 v49, v33, v36
	v_add_f32_e32 v19, v63, v33
	v_fmac_f32_e32 v63, -0.5, v49
	v_fmamk_f32 v49, v48, 0x3f737871, v63
	v_fmac_f32_e32 v63, 0xbf737871, v48
	v_fmac_f32_e32 v49, 0xbf167918, v40
	;; [unrolled: 1-line block ×3, first 2 shown]
	v_add_f32_e32 v40, v64, v0
	v_add_f32_e32 v40, v40, v20
	v_fmac_f32_e32 v31, v66, v110
	v_sub_f32_e32 v51, v34, v33
	v_sub_f32_e32 v66, v35, v36
	v_add_f32_e32 v40, v40, v21
	v_fma_f32 v6, v6, v86, -v82
	v_add_f32_e32 v51, v51, v66
	v_add_f32_e32 v48, v40, v32
	;; [unrolled: 1-line block ×3, first 2 shown]
	v_fma_f32 v10, v10, v100, -v85
	v_fmac_f32_e32 v49, 0x3e9e377a, v51
	v_fmac_f32_e32 v63, 0x3e9e377a, v51
	v_fma_f32 v51, -0.5, v40, v64
	v_sub_f32_e32 v40, v6, v11
	v_fmac_f32_e32 v27, v68, v106
	v_fmac_f32_e32 v30, v67, v108
	v_fmamk_f32 v66, v40, 0xbf737871, v51
	v_sub_f32_e32 v67, v7, v10
	v_sub_f32_e32 v68, v0, v20
	;; [unrolled: 1-line block ×3, first 2 shown]
	v_fmac_f32_e32 v51, 0x3f737871, v40
	v_fmac_f32_e32 v66, 0xbf167918, v67
	v_add_f32_e32 v68, v68, v70
	v_fmac_f32_e32 v51, 0x3f167918, v67
	v_fmac_f32_e32 v66, 0x3e9e377a, v68
	;; [unrolled: 1-line block ×3, first 2 shown]
	v_add_f32_e32 v68, v0, v32
	v_add_f32_e32 v13, v13, v39
	v_fmac_f32_e32 v64, -0.5, v68
	v_add_f32_e32 v13, v13, v52
	v_fmamk_f32 v68, v67, 0x3f737871, v64
	v_fmac_f32_e32 v64, 0xbf737871, v67
	v_add_f32_e32 v13, v13, v54
	v_fmac_f32_e32 v68, 0xbf167918, v40
	v_fmac_f32_e32 v64, 0x3f167918, v40
	v_add3_u32 v40, 0, v37, v59
	v_add_f32_e32 v19, v19, v34
	ds_write2_b32 v40, v13, v42 offset1:17
	ds_write2_b32 v40, v44, v65 offset0:34 offset1:51
	ds_write_b32 v40, v15 offset:272
	v_mul_u32_u24_e32 v13, 0x154, v55
	v_mul_f32_e32 v26, v9, v105
	v_mul_f32_e32 v89, v91, v105
	v_add_f32_e32 v19, v19, v35
	v_sub_f32_e32 v70, v20, v0
	v_sub_f32_e32 v71, v21, v32
	v_add3_u32 v42, 0, v13, v60
	v_mul_u32_u24_e32 v13, 0x154, v56
	v_fmac_f32_e32 v26, v91, v104
	v_fma_f32 v9, v9, v104, -v89
	v_add_f32_e32 v19, v19, v36
	v_add_f32_e32 v70, v70, v71
	v_add3_u32 v44, 0, v13, v69
	v_lshlrev_b32_e32 v37, 2, v58
	v_fmac_f32_e32 v68, 0x3e9e377a, v70
	v_fmac_f32_e32 v64, 0x3e9e377a, v70
	ds_write2_b32 v42, v19, v47 offset1:17
	ds_write2_b32 v42, v49, v63 offset0:34 offset1:51
	ds_write_b32 v42, v45 offset:272
	ds_write2_b32 v44, v48, v66 offset1:17
	ds_write2_b32 v44, v68, v64 offset0:34 offset1:51
	ds_write_b32 v44, v51 offset:272
	s_and_saveexec_b64 s[4:5], s[0:1]
	s_cbranch_execz .LBB0_19
; %bb.18:
	v_add_f32_e32 v19, v26, v31
	v_sub_f32_e32 v13, v27, v26
	v_sub_f32_e32 v15, v30, v31
	v_fma_f32 v19, -0.5, v19, v1
	v_sub_f32_e32 v45, v17, v28
	v_add_f32_e32 v13, v13, v15
	v_sub_f32_e32 v15, v9, v29
	v_fmamk_f32 v47, v45, 0xbf737871, v19
	v_fmac_f32_e32 v19, 0x3f737871, v45
	v_fmac_f32_e32 v47, 0x3f167918, v15
	;; [unrolled: 1-line block ×5, first 2 shown]
	v_sub_f32_e32 v13, v26, v27
	v_sub_f32_e32 v48, v31, v30
	v_add_f32_e32 v13, v13, v48
	v_add_f32_e32 v48, v27, v30
	v_fma_f32 v48, -0.5, v48, v1
	v_fmamk_f32 v49, v15, 0x3f737871, v48
	v_fmac_f32_e32 v48, 0xbf737871, v15
	v_fmac_f32_e32 v49, 0x3f167918, v45
	;; [unrolled: 1-line block ×3, first 2 shown]
	v_add_f32_e32 v1, v1, v26
	v_fmac_f32_e32 v49, 0x3e9e377a, v13
	v_fmac_f32_e32 v48, 0x3e9e377a, v13
	v_add_f32_e32 v1, v1, v27
	v_mul_lo_u16_e32 v13, 0x55, v25
	v_add_f32_e32 v1, v1, v30
	v_lshlrev_b32_e32 v13, 2, v13
	v_add_f32_e32 v1, v1, v31
	v_add3_u32 v13, 0, v37, v13
	ds_write2_b32 v13, v1, v48 offset1:17
	ds_write2_b32 v13, v19, v47 offset0:34 offset1:51
	ds_write_b32 v13, v49 offset:272
.LBB0_19:
	s_or_b64 exec, exec, s[4:5]
	v_add_f32_e32 v13, v41, v50
	v_fma_f32 v45, -0.5, v13, v24
	v_sub_f32_e32 v13, v38, v54
	v_fmamk_f32 v47, v13, 0x3f737871, v45
	v_sub_f32_e32 v15, v39, v52
	v_sub_f32_e32 v19, v46, v41
	;; [unrolled: 1-line block ×3, first 2 shown]
	v_fmac_f32_e32 v45, 0xbf737871, v13
	v_fmac_f32_e32 v47, 0x3f167918, v15
	v_add_f32_e32 v19, v19, v38
	v_fmac_f32_e32 v45, 0xbf167918, v15
	v_fmac_f32_e32 v47, 0x3e9e377a, v19
	;; [unrolled: 1-line block ×3, first 2 shown]
	v_add_f32_e32 v19, v46, v43
	v_add_f32_e32 v1, v24, v46
	v_fmac_f32_e32 v24, -0.5, v19
	v_fmamk_f32 v39, v15, 0xbf737871, v24
	v_fmac_f32_e32 v24, 0x3f737871, v15
	v_fmac_f32_e32 v39, 0x3f167918, v13
	;; [unrolled: 1-line block ×3, first 2 shown]
	v_add_f32_e32 v13, v22, v16
	v_add_f32_e32 v13, v13, v14
	v_add_f32_e32 v1, v1, v41
	v_add_f32_e32 v13, v13, v18
	v_add_f32_e32 v1, v1, v50
	v_sub_f32_e32 v19, v41, v46
	v_sub_f32_e32 v38, v50, v43
	v_add_f32_e32 v41, v13, v12
	v_add_f32_e32 v13, v14, v18
	;; [unrolled: 1-line block ×4, first 2 shown]
	v_fma_f32 v43, -0.5, v13, v22
	v_sub_f32_e32 v13, v33, v36
	v_fmac_f32_e32 v39, 0x3e9e377a, v19
	v_fmac_f32_e32 v24, 0x3e9e377a, v19
	v_fmamk_f32 v36, v13, 0x3f737871, v43
	v_sub_f32_e32 v15, v34, v35
	v_sub_f32_e32 v19, v16, v14
	;; [unrolled: 1-line block ×3, first 2 shown]
	v_fmac_f32_e32 v43, 0xbf737871, v13
	v_fmac_f32_e32 v36, 0x3f167918, v15
	v_add_f32_e32 v19, v19, v33
	v_fmac_f32_e32 v43, 0xbf167918, v15
	v_fmac_f32_e32 v36, 0x3e9e377a, v19
	;; [unrolled: 1-line block ×3, first 2 shown]
	v_add_f32_e32 v19, v16, v12
	v_fmac_f32_e32 v22, -0.5, v19
	v_fmamk_f32 v34, v15, 0xbf737871, v22
	v_sub_f32_e32 v14, v14, v16
	v_sub_f32_e32 v12, v18, v12
	v_fmac_f32_e32 v22, 0x3f737871, v15
	v_fmac_f32_e32 v34, 0x3f167918, v13
	v_add_f32_e32 v12, v14, v12
	v_fmac_f32_e32 v22, 0xbf167918, v13
	v_fmac_f32_e32 v34, 0x3e9e377a, v12
	;; [unrolled: 1-line block ×3, first 2 shown]
	v_add_f32_e32 v12, v23, v6
	v_add_f32_e32 v12, v12, v7
	;; [unrolled: 1-line block ×5, first 2 shown]
	v_fma_f32 v48, -0.5, v12, v23
	v_sub_f32_e32 v0, v0, v32
	v_fmamk_f32 v32, v0, 0x3f737871, v48
	v_sub_f32_e32 v12, v20, v21
	v_sub_f32_e32 v13, v6, v7
	;; [unrolled: 1-line block ×3, first 2 shown]
	v_fmac_f32_e32 v48, 0xbf737871, v0
	v_fmac_f32_e32 v32, 0x3f167918, v12
	v_add_f32_e32 v13, v13, v14
	v_fmac_f32_e32 v48, 0xbf167918, v12
	v_fmac_f32_e32 v32, 0x3e9e377a, v13
	;; [unrolled: 1-line block ×3, first 2 shown]
	v_add_f32_e32 v13, v6, v11
	v_fmac_f32_e32 v23, -0.5, v13
	v_fmamk_f32 v49, v12, 0xbf737871, v23
	v_sub_f32_e32 v6, v7, v6
	v_sub_f32_e32 v7, v10, v11
	v_fmac_f32_e32 v23, 0x3f737871, v12
	v_fmac_f32_e32 v49, 0x3f167918, v0
	v_add_f32_e32 v6, v6, v7
	v_fmac_f32_e32 v23, 0xbf167918, v0
	v_fmac_f32_e32 v49, 0x3e9e377a, v6
	;; [unrolled: 1-line block ×3, first 2 shown]
	s_waitcnt lgkmcnt(0)
	s_barrier
	ds_read_b32 v35, v53
	ds_read_b32 v33, v62
	ds_read_b32 v16, v61 offset:5440
	ds_read_b32 v0, v61
	ds_read_b32 v38, v57
	v_add_u32_e32 v6, 0x400, v61
	ds_read2_b32 v[20:21], v6 offset0:84 offset1:169
	v_add_u32_e32 v6, 0x600, v61
	ds_read2_b32 v[18:19], v6 offset0:126 offset1:211
	v_add_u32_e32 v6, 0x800, v61
	v_add_u32_e32 v10, 0xc00, v61
	;; [unrolled: 1-line block ×4, first 2 shown]
	ds_read2_b32 v[6:7], v6 offset0:168 offset1:253
	ds_read2_b32 v[10:11], v10 offset0:82 offset1:167
	;; [unrolled: 1-line block ×4, first 2 shown]
	s_waitcnt lgkmcnt(0)
	s_barrier
	ds_write2_b32 v40, v1, v47 offset1:17
	ds_write2_b32 v40, v39, v24 offset0:34 offset1:51
	ds_write_b32 v40, v45 offset:272
	ds_write2_b32 v42, v41, v36 offset1:17
	ds_write2_b32 v42, v34, v22 offset0:34 offset1:51
	ds_write_b32 v42, v43 offset:272
	;; [unrolled: 3-line block ×3, first 2 shown]
	s_and_saveexec_b64 s[4:5], s[0:1]
	s_cbranch_execz .LBB0_21
; %bb.20:
	v_add_f32_e32 v22, v17, v28
	v_fma_f32 v22, -0.5, v22, v8
	v_sub_f32_e32 v23, v26, v31
	v_fmamk_f32 v24, v23, 0x3f737871, v22
	v_sub_f32_e32 v26, v27, v30
	v_sub_f32_e32 v27, v9, v17
	;; [unrolled: 1-line block ×3, first 2 shown]
	v_fmac_f32_e32 v22, 0xbf737871, v23
	v_fmac_f32_e32 v24, 0x3f167918, v26
	v_add_f32_e32 v27, v27, v30
	v_fmac_f32_e32 v22, 0xbf167918, v26
	v_fmac_f32_e32 v24, 0x3e9e377a, v27
	;; [unrolled: 1-line block ×3, first 2 shown]
	v_add_f32_e32 v27, v9, v29
	v_add_f32_e32 v1, v8, v9
	v_fmac_f32_e32 v8, -0.5, v27
	v_add_f32_e32 v1, v1, v17
	v_fmamk_f32 v27, v26, 0xbf737871, v8
	v_sub_f32_e32 v9, v17, v9
	v_sub_f32_e32 v17, v28, v29
	v_fmac_f32_e32 v8, 0x3f737871, v26
	v_fmac_f32_e32 v27, 0x3f167918, v23
	v_add_f32_e32 v9, v9, v17
	v_fmac_f32_e32 v8, 0xbf167918, v23
	v_fmac_f32_e32 v27, 0x3e9e377a, v9
	v_fmac_f32_e32 v8, 0x3e9e377a, v9
	v_mul_lo_u16_e32 v9, 0x55, v25
	v_add_f32_e32 v1, v1, v28
	v_lshlrev_b32_e32 v9, 2, v9
	v_add_f32_e32 v1, v1, v29
	v_add3_u32 v9, 0, v37, v9
	ds_write2_b32 v9, v1, v24 offset1:17
	ds_write2_b32 v9, v27, v8 offset0:34 offset1:51
	ds_write_b32 v9, v22 offset:272
.LBB0_21:
	s_or_b64 exec, exec, s[4:5]
	s_waitcnt lgkmcnt(0)
	s_barrier
	s_and_saveexec_b64 s[0:1], vcc
	s_cbranch_execz .LBB0_23
; %bb.22:
	v_lshlrev_b32_e32 v8, 4, v81
	v_mov_b32_e32 v9, 0
	v_lshl_add_u64 v[8:9], v[8:9], 3, s[8:9]
	global_load_dwordx4 v[22:25], v[8:9], off offset:544
	global_load_dwordx4 v[26:29], v[8:9], off offset:560
	;; [unrolled: 1-line block ×6, first 2 shown]
	ds_read_b32 v39, v62
	ds_read_b32 v30, v61 offset:5440
	ds_read_b32 v1, v61
	v_add_u32_e32 v32, 0x1000, v61
	ds_read_b32 v41, v53
	ds_read_b32 v59, v57
	v_add_u32_e32 v54, 0xc00, v61
	v_add_u32_e32 v55, 0x600, v61
	;; [unrolled: 1-line block ×3, first 2 shown]
	global_load_dwordx4 v[50:53], v[8:9], off offset:624
	v_add_u32_e32 v34, 0xe00, v61
	v_add_u32_e32 v40, 0x400, v61
	ds_read2_b32 v[60:61], v32 offset0:166 offset1:251
	ds_read2_b32 v[62:63], v34 offset0:124 offset1:209
	;; [unrolled: 1-line block ×6, first 2 shown]
	global_load_dwordx4 v[54:57], v[8:9], off offset:608
	v_mul_lo_u32 v17, s3, v4
	v_mul_lo_u32 v31, s2, v5
	v_mad_u64_u32 v[4:5], s[0:1], s2, v4, 0
	v_add3_u32 v5, v5, v31, v17
	v_lshl_add_u64 v[4:5], v[4:5], 3, s[6:7]
	v_mad_u64_u32 v[36:37], s[0:1], s16, v83, 0
	v_lshl_add_u64 v[84:85], v[2:3], 3, v[4:5]
	v_mov_b32_e32 v58, v15
	v_mov_b32_e32 v32, v37
	s_waitcnt lgkmcnt(5)
	v_mov_b32_e32 v2, v61
	v_mad_u64_u32 v[8:9], s[0:1], s17, v83, v[32:33]
	v_mov_b32_e32 v37, v8
	v_lshl_add_u64 v[8:9], v[36:37], 3, v[84:85]
	s_mov_b32 s20, 0x3f6eb680
	s_mov_b32 s21, 0xbeb8f4ab
	;; [unrolled: 1-line block ×46, first 2 shown]
	s_waitcnt vmcnt(7)
	v_mul_f32_e32 v3, v35, v23
	v_mul_f32_e32 v15, v38, v25
	v_fma_f32 v81, v41, v22, -v3
	s_waitcnt vmcnt(6)
	v_mul_f32_e32 v17, v33, v27
	s_waitcnt vmcnt(3)
	v_pk_mul_f32 v[4:5], v[30:31], v[66:67] op_sel_hi:[0,1]
	v_pk_mul_f32 v[30:31], v[2:3], v[64:65] op_sel_hi:[0,1]
	v_fma_f32 v88, v59, v24, -v15
	v_add_f32_e32 v2, v1, v81
	v_mul_f32_e32 v80, v41, v23
	v_mul_f32_e32 v23, v20, v29
	v_fma_f32 v90, v39, v26, -v17
	v_add_f32_e32 v2, v2, v88
	v_mul_f32_e32 v82, v59, v25
	s_waitcnt lgkmcnt(3)
	v_mul_f32_e32 v32, v72, v29
	v_mul_f32_e32 v25, v21, v43
	s_waitcnt lgkmcnt(1)
	v_mul_f32_e32 v36, v76, v45
	v_mul_f32_e32 v40, v77, v47
	v_fma_f32 v72, v72, v28, -v23
	v_add_f32_e32 v2, v2, v90
	v_mul_f32_e32 v86, v39, v27
	v_mul_f32_e32 v34, v73, v43
	;; [unrolled: 1-line block ×4, first 2 shown]
	v_fma_f32 v92, v73, v42, -v25
	v_fmac_f32_e32 v36, v18, v44
	v_fmac_f32_e32 v40, v19, v46
	v_pk_fma_f32 v[18:19], v[16:17], v[66:67], v[4:5] op_sel:[0,0,1] op_sel_hi:[0,1,0]
	v_pk_fma_f32 v[16:17], v[16:17], v[66:67], v[4:5] op_sel:[0,0,1] op_sel_hi:[0,1,0] neg_lo:[1,0,0] neg_hi:[1,0,0]
	v_add_f32_e32 v2, v2, v72
	v_fmac_f32_e32 v80, v35, v22
	v_fmac_f32_e32 v82, v38, v24
	;; [unrolled: 1-line block ×3, first 2 shown]
	v_add_f32_e32 v3, v17, v81
	v_add_f32_e32 v21, v2, v92
	s_waitcnt vmcnt(2)
	v_pk_mul_f32 v[24:25], v[60:61], v[70:71] op_sel_hi:[0,1]
	v_mov_b32_e32 v2, v63
	v_fmac_f32_e32 v86, v33, v26
	v_fmac_f32_e32 v32, v20, v28
	v_fma_f32 v37, v76, v44, -v27
	v_fma_f32 v41, v77, v46, -v29
	v_add_f32_e32 v4, v0, v80
	v_pk_fma_f32 v[28:29], v[58:59], v[64:65], v[30:31] op_sel:[0,0,1] op_sel_hi:[0,1,0]
	v_pk_fma_f32 v[26:27], v[58:59], v[64:65], v[30:31] op_sel:[0,0,1] op_sel_hi:[0,1,0] neg_lo:[1,0,0] neg_hi:[1,0,0]
	v_pk_fma_f32 v[30:31], v[14:15], v[70:71], v[24:25] op_sel:[0,0,1] op_sel_hi:[0,1,0]
	v_pk_fma_f32 v[44:45], v[14:15], v[70:71], v[24:25] op_sel:[0,0,1] op_sel_hi:[0,1,0] neg_lo:[1,0,0] neg_hi:[1,0,0]
	v_pk_mul_f32 v[24:25], v[2:3], v[68:69] op_sel_hi:[0,1]
	v_mov_b32_e32 v2, v13
	v_add_f32_e32 v4, v4, v82
	v_pk_fma_f32 v[58:59], v[2:3], v[68:69], v[24:25] op_sel:[0,0,1] op_sel_hi:[0,1,0]
	v_pk_fma_f32 v[60:61], v[2:3], v[68:69], v[24:25] op_sel:[0,0,1] op_sel_hi:[0,1,0] neg_lo:[1,0,0] neg_hi:[1,0,0]
	s_waitcnt vmcnt(1)
	v_pk_mul_f32 v[38:39], v[62:63], v[52:53] op_sel_hi:[0,1]
	v_mov_b32_e32 v2, v75
	v_add_f32_e32 v4, v4, v86
	v_pk_fma_f32 v[64:65], v[12:13], v[52:53], v[38:39] op_sel:[0,0,1] op_sel_hi:[0,1,0]
	v_pk_fma_f32 v[62:63], v[12:13], v[52:53], v[38:39] op_sel:[0,0,1] op_sel_hi:[0,1,0] neg_lo:[1,0,0] neg_hi:[1,0,0]
	v_pk_mul_f32 v[38:39], v[2:3], v[50:51] op_sel_hi:[0,1]
	v_mov_b32_e32 v2, v11
	s_waitcnt vmcnt(0)
	v_pk_mul_f32 v[42:43], v[74:75], v[56:57] op_sel_hi:[0,1]
	v_add_f32_e32 v4, v4, v32
	v_pk_fma_f32 v[66:67], v[2:3], v[50:51], v[38:39] op_sel:[0,0,1] op_sel_hi:[0,1,0]
	v_pk_fma_f32 v[68:69], v[2:3], v[50:51], v[38:39] op_sel:[0,0,1] op_sel_hi:[0,1,0] neg_lo:[1,0,0] neg_hi:[1,0,0]
	v_pk_fma_f32 v[94:95], v[10:11], v[56:57], v[42:43] op_sel:[0,0,1] op_sel_hi:[0,1,0]
	v_pk_fma_f32 v[96:97], v[10:11], v[56:57], v[42:43] op_sel:[0,0,1] op_sel_hi:[0,1,0] neg_lo:[1,0,0] neg_hi:[1,0,0]
	v_mov_b32_e32 v42, v49
	v_mov_b32_e32 v43, v48
	v_pk_mul_f32 v[46:47], v[6:7], v[48:49] op_sel_hi:[0,1]
	s_waitcnt lgkmcnt(0)
	v_mov_b32_e32 v2, v79
	v_add_f32_e32 v20, v4, v34
	v_pk_fma_f32 v[98:99], v[78:79], v[42:43], v[46:47] op_sel_hi:[0,1,1]
	v_pk_fma_f32 v[100:101], v[78:79], v[42:43], v[46:47] op_sel_hi:[0,1,1] neg_lo:[0,0,1] neg_hi:[0,0,1]
	v_pk_mul_f32 v[46:47], v[2:3], v[54:55] op_sel_hi:[0,1]
	v_mov_b32_e32 v2, v7
	v_mov_b32_e32 v19, v17
	v_pk_fma_f32 v[102:103], v[2:3], v[54:55], v[46:47] op_sel:[0,0,1] op_sel_hi:[0,1,0]
	v_pk_fma_f32 v[104:105], v[2:3], v[54:55], v[46:47] op_sel:[0,0,1] op_sel_hi:[0,1,0] neg_lo:[1,0,0] neg_hi:[1,0,0]
	v_sub_f32_e32 v2, v81, v17
	v_pk_add_f32 v[16:17], v[20:21], v[36:37]
	v_mov_b32_e32 v42, v98
	v_mov_b32_e32 v43, v101
	v_pk_add_f32 v[16:17], v[16:17], v[40:41]
	v_mov_b32_e32 v6, v102
	v_mov_b32_e32 v7, v105
	v_pk_add_f32 v[16:17], v[16:17], v[42:43]
	v_mov_b32_e32 v10, v94
	v_mov_b32_e32 v11, v97
	v_pk_add_f32 v[6:7], v[6:7], v[16:17]
	v_mov_b32_e32 v38, v66
	v_mov_b32_e32 v39, v69
	v_pk_add_f32 v[6:7], v[10:11], v[6:7]
	v_mov_b32_e32 v12, v64
	v_mov_b32_e32 v13, v63
	v_pk_add_f32 v[6:7], v[38:39], v[6:7]
	v_mov_b32_e32 v24, v58
	v_mov_b32_e32 v25, v61
	v_pk_add_f32 v[6:7], v[12:13], v[6:7]
	v_mov_b32_e32 v14, v30
	v_mov_b32_e32 v15, v45
	v_pk_add_f32 v[6:7], v[24:25], v[6:7]
	v_mov_b32_e32 v22, v28
	v_mov_b32_e32 v23, v27
	v_pk_add_f32 v[6:7], v[14:15], v[6:7]
	v_sub_f32_e32 v5, v80, v18
	v_pk_add_f32 v[6:7], v[22:23], v[6:7]
	v_add_f32_e32 v4, v18, v80
	v_pk_add_f32 v[6:7], v[18:19], v[6:7]
	global_store_dwordx2 v[8:9], v[6:7], off
	v_add_u32_e32 v9, 0x55, v83
	v_mad_u64_u32 v[6:7], s[0:1], s16, v9, 0
	v_mov_b32_e32 v8, v7
	v_mad_u64_u32 v[8:9], s[0:1], s17, v9, v[8:9]
	v_mov_b32_e32 v7, v8
	v_add_u32_e32 v9, 0xaa, v83
	v_lshl_add_u64 v[76:77], v[6:7], 3, v[84:85]
	v_mad_u64_u32 v[6:7], s[0:1], s16, v9, 0
	v_mov_b32_e32 v8, v7
	v_mad_u64_u32 v[8:9], s[0:1], s17, v9, v[8:9]
	v_mov_b32_e32 v7, v8
	v_add_u32_e32 v9, 0xff, v83
	v_lshl_add_u64 v[80:81], v[6:7], 3, v[84:85]
	;; [unrolled: 6-line block ×7, first 2 shown]
	v_mad_u64_u32 v[6:7], s[0:1], s16, v9, 0
	v_mov_b32_e32 v8, v7
	v_mad_u64_u32 v[8:9], s[0:1], s17, v9, v[8:9]
	v_add_u32_e32 v11, 0x2fd, v83
	v_mov_b32_e32 v7, v8
	v_mad_u64_u32 v[8:9], s[0:1], s16, v11, 0
	v_mov_b32_e32 v10, v9
	v_mad_u64_u32 v[10:11], s[0:1], s17, v11, v[10:11]
	v_add_u32_e32 v13, 0x352, v83
	v_mov_b32_e32 v9, v10
	;; [unrolled: 5-line block ×8, first 2 shown]
	v_mad_u64_u32 v[22:23], s[0:1], s16, v33, 0
	v_mov_b32_e32 v38, v23
	v_pk_add_f32 v[46:47], v[82:83], v[28:29]
	v_pk_add_f32 v[28:29], v[82:83], v[28:29] neg_lo:[0,1] neg_hi:[0,1]
	v_pk_add_f32 v[52:53], v[86:87], v[30:31]
	v_pk_add_f32 v[30:31], v[86:87], v[30:31] neg_lo:[0,1] neg_hi:[0,1]
	v_mad_u64_u32 v[38:39], s[0:1], s17, v33, v[38:39]
	v_mov_b32_e32 v47, v28
	v_pk_add_f32 v[42:43], v[90:91], v[44:45] op_sel:[0,1] neg_lo:[0,1] neg_hi:[0,1]
	v_pk_add_f32 v[28:29], v[90:91], v[44:45] op_sel_hi:[0,1]
	v_mov_b32_e32 v53, v30
	v_pk_add_f32 v[44:45], v[72:73], v[60:61] op_sel:[0,1] neg_lo:[0,1] neg_hi:[0,1]
	v_pk_add_f32 v[30:31], v[72:73], v[60:61] op_sel_hi:[0,1]
	v_pk_add_f32 v[60:61], v[32:33], v[58:59]
	v_pk_add_f32 v[32:33], v[32:33], v[58:59] neg_lo:[0,1] neg_hi:[0,1]
	v_pk_add_f32 v[48:49], v[92:93], v[62:63] op_sel:[0,1] neg_lo:[0,1] neg_hi:[0,1]
	v_mov_b32_e32 v61, v32
	v_pk_add_f32 v[32:33], v[92:93], v[62:63] op_sel_hi:[0,1]
	v_pk_add_f32 v[62:63], v[34:35], v[64:65]
	v_pk_add_f32 v[34:35], v[34:35], v[64:65] neg_lo:[0,1] neg_hi:[0,1]
	v_mov_b32_e32 v56, v37
	v_mov_b32_e32 v63, v34
	;; [unrolled: 1-line block ×4, first 2 shown]
	v_pk_add_f32 v[38:39], v[88:89], v[26:27] op_sel:[0,1] neg_lo:[0,1] neg_hi:[0,1]
	v_pk_add_f32 v[26:27], v[88:89], v[26:27] op_sel_hi:[0,1]
	v_pk_add_f32 v[54:55], v[34:35], v[68:69] op_sel:[0,1] neg_lo:[0,1] neg_hi:[0,1]
	v_pk_add_f32 v[34:35], v[56:57], v[68:69] op_sel_hi:[0,1]
	v_pk_add_f32 v[64:65], v[36:37], v[66:67]
	v_pk_add_f32 v[36:37], v[36:37], v[66:67] neg_lo:[0,1] neg_hi:[0,1]
	v_pk_add_f32 v[68:69], v[98:99], v[102:103]
	v_pk_add_f32 v[72:73], v[98:99], v[102:103] neg_lo:[0,1] neg_hi:[0,1]
	v_pk_mul_f32 v[82:83], v[4:5], s[20:21]
	v_lshl_add_u64 v[6:7], v[6:7], 3, v[84:85]
	v_lshl_add_u64 v[8:9], v[8:9], 3, v[84:85]
	;; [unrolled: 1-line block ×9, first 2 shown]
	v_mov_b32_e32 v26, v38
	v_mov_b32_e32 v65, v36
	;; [unrolled: 1-line block ×4, first 2 shown]
	v_pk_add_f32 v[66:67], v[40:41], v[94:95]
	v_pk_add_f32 v[40:41], v[40:41], v[94:95] neg_lo:[0,1] neg_hi:[0,1]
	v_mov_b32_e32 v69, v72
	v_pk_mul_f32 v[84:85], v[46:47], s[34:35]
	v_pk_fma_f32 v[72:73], v[2:3], s[10:11], v[82:83] neg_lo:[1,0,0] neg_hi:[1,0,0]
	v_pk_fma_f32 v[98:99], v[2:3], s[10:11], v[82:83]
	v_pk_add_f32 v[56:57], v[36:37], v[96:97] op_sel:[0,1] neg_lo:[0,1] neg_hi:[0,1]
	v_pk_add_f32 v[36:37], v[58:59], v[96:97] op_sel_hi:[0,1]
	v_mov_b32_e32 v67, v40
	v_pk_add_f32 v[58:59], v[100:101], v[104:105] neg_lo:[0,1] neg_hi:[0,1]
	v_pk_add_f32 v[40:41], v[100:101], v[104:105]
	v_mov_b32_e32 v73, v99
	v_pk_fma_f32 v[100:101], v[38:39], s[26:27], v[84:85] neg_lo:[1,0,0] neg_hi:[1,0,0]
	v_pk_fma_f32 v[102:103], v[26:27], s[26:27], v[84:85]
	v_mov_b32_e32 v28, v42
	v_pk_mul_f32 v[86:87], v[52:53], s[44:45]
	v_pk_add_f32 v[72:73], v[0:1], v[72:73]
	v_mov_b32_e32 v101, v103
	v_pk_add_f32 v[72:73], v[72:73], v[100:101]
	v_pk_fma_f32 v[100:101], v[42:43], s[40:41], v[86:87] neg_lo:[1,0,0] neg_hi:[1,0,0]
	v_pk_fma_f32 v[104:105], v[28:29], s[40:41], v[86:87]
	v_mov_b32_e32 v30, v44
	v_pk_mul_f32 v[88:89], v[60:61], s[24:25]
	s_mov_b32 s16, s25
	s_mov_b32 s17, s24
	v_mov_b32_e32 v101, v105
	v_pk_add_f32 v[72:73], v[72:73], v[100:101]
	v_pk_fma_f32 v[100:101], v[44:45], s[16:17], v[88:89] neg_lo:[1,0,0] neg_hi:[1,0,0]
	v_pk_fma_f32 v[106:107], v[30:31], s[16:17], v[88:89]
	v_mov_b32_e32 v32, v48
	v_pk_mul_f32 v[90:91], v[62:63], s[8:9]
	s_mov_b32 s0, s9
	s_mov_b32 s1, s8
	v_mov_b32_e32 v101, v107
	v_pk_fma_f32 v[82:83], v[2:3], s[10:11], v[82:83] neg_lo:[0,0,1] neg_hi:[0,0,1]
	v_pk_add_f32 v[72:73], v[72:73], v[100:101]
	v_pk_fma_f32 v[100:101], v[48:49], s[0:1], v[90:91] neg_lo:[1,0,0] neg_hi:[1,0,0]
	v_pk_fma_f32 v[108:109], v[32:33], s[0:1], v[90:91]
	v_mov_b32_e32 v99, v83
	v_pk_fma_f32 v[84:85], v[26:27], s[26:27], v[84:85] neg_lo:[0,0,1] neg_hi:[0,0,1]
	v_mov_b32_e32 v34, v54
	v_pk_mul_f32 v[92:93], v[64:65], s[12:13]
	v_mov_b32_e32 v101, v109
	v_pk_add_f32 v[82:83], v[0:1], v[98:99]
	v_mov_b32_e32 v103, v85
	v_pk_fma_f32 v[84:85], v[28:29], s[40:41], v[86:87] neg_lo:[0,0,1] neg_hi:[0,0,1]
	v_pk_add_f32 v[72:73], v[72:73], v[100:101]
	v_pk_fma_f32 v[100:101], v[54:55], s[2:3], v[92:93] neg_lo:[1,0,0] neg_hi:[1,0,0]
	v_pk_fma_f32 v[110:111], v[34:35], s[2:3], v[92:93]
	v_pk_add_f32 v[82:83], v[82:83], v[102:103]
	v_mov_b32_e32 v105, v85
	v_pk_fma_f32 v[84:85], v[30:31], s[16:17], v[88:89] neg_lo:[0,0,1] neg_hi:[0,0,1]
	v_mov_b32_e32 v36, v56
	v_pk_mul_f32 v[94:95], v[66:67], s[14:15]
	v_mov_b32_e32 v101, v111
	v_pk_add_f32 v[82:83], v[82:83], v[104:105]
	v_mov_b32_e32 v107, v85
	v_pk_fma_f32 v[84:85], v[32:33], s[0:1], v[90:91] neg_lo:[0,0,1] neg_hi:[0,0,1]
	v_pk_add_f32 v[72:73], v[72:73], v[100:101]
	v_pk_fma_f32 v[100:101], v[56:57], s[4:5], v[94:95] neg_lo:[1,0,0] neg_hi:[1,0,0]
	v_pk_fma_f32 v[112:113], v[36:37], s[4:5], v[94:95]
	v_pk_add_f32 v[82:83], v[82:83], v[106:107]
	v_mov_b32_e32 v109, v85
	v_pk_fma_f32 v[84:85], v[34:35], s[2:3], v[92:93] neg_lo:[0,0,1] neg_hi:[0,0,1]
	v_mov_b32_e32 v40, v59
	v_pk_mul_f32 v[96:97], v[68:69], s[18:19]
	v_mov_b32_e32 v101, v113
	v_pk_add_f32 v[82:83], v[82:83], v[108:109]
	v_mov_b32_e32 v111, v85
	v_pk_fma_f32 v[84:85], v[36:37], s[4:5], v[94:95] neg_lo:[0,0,1] neg_hi:[0,0,1]
	v_pk_add_f32 v[72:73], v[72:73], v[100:101]
	v_pk_fma_f32 v[100:101], v[58:59], s[6:7], v[96:97] op_sel:[1,0,0] neg_lo:[1,0,0] neg_hi:[1,0,0]
	v_pk_fma_f32 v[114:115], v[40:41], s[6:7], v[96:97]
	v_pk_add_f32 v[82:83], v[82:83], v[110:111]
	v_mov_b32_e32 v113, v85
	v_pk_fma_f32 v[84:85], v[40:41], s[6:7], v[96:97] neg_lo:[0,0,1] neg_hi:[0,0,1]
	v_mov_b32_e32 v101, v115
	v_pk_add_f32 v[82:83], v[82:83], v[112:113]
	v_mov_b32_e32 v115, v85
	v_pk_add_f32 v[82:83], v[82:83], v[114:115]
	global_store_dwordx2 v[76:77], v[82:83], off
	v_pk_mul_f32 v[82:83], v[4:5], s[34:35]
	v_pk_mul_f32 v[86:87], v[46:47], s[24:25]
	v_pk_fma_f32 v[76:77], v[2:3], s[26:27], v[82:83] neg_lo:[1,0,0] neg_hi:[1,0,0]
	v_pk_fma_f32 v[84:85], v[2:3], s[26:27], v[82:83]
	v_pk_add_f32 v[72:73], v[72:73], v[100:101]
	v_mov_b32_e32 v77, v85
	v_pk_fma_f32 v[100:101], v[38:39], s[16:17], v[86:87] neg_lo:[1,0,0] neg_hi:[1,0,0]
	v_pk_fma_f32 v[102:103], v[26:27], s[16:17], v[86:87]
	v_pk_add_f32 v[76:77], v[0:1], v[76:77]
	v_pk_mul_f32 v[88:89], v[52:53], s[12:13]
	v_mov_b32_e32 v101, v103
	v_pk_add_f32 v[76:77], v[76:77], v[100:101]
	v_pk_fma_f32 v[100:101], v[42:43], s[2:3], v[88:89] neg_lo:[1,0,0] neg_hi:[1,0,0]
	v_pk_fma_f32 v[104:105], v[28:29], s[2:3], v[88:89]
	v_pk_mul_f32 v[90:91], v[60:61], s[18:19]
	v_mov_b32_e32 v101, v105
	v_pk_add_f32 v[76:77], v[76:77], v[100:101]
	v_pk_fma_f32 v[100:101], v[44:45], s[6:7], v[90:91] neg_lo:[1,0,0] neg_hi:[1,0,0]
	v_pk_fma_f32 v[106:107], v[30:31], s[6:7], v[90:91]
	v_pk_fma_f32 v[82:83], v[2:3], s[26:27], v[82:83] neg_lo:[0,0,1] neg_hi:[0,0,1]
	v_pk_mul_f32 v[92:93], v[62:63], s[54:55]
	v_mov_b32_e32 v101, v107
	v_mov_b32_e32 v85, v83
	v_pk_add_f32 v[76:77], v[76:77], v[100:101]
	v_pk_fma_f32 v[100:101], v[48:49], s[50:51], v[92:93] neg_lo:[1,0,0] neg_hi:[1,0,0]
	v_pk_fma_f32 v[108:109], v[32:33], s[50:51], v[92:93]
	v_pk_add_f32 v[82:83], v[0:1], v[84:85]
	v_pk_fma_f32 v[84:85], v[26:27], s[16:17], v[86:87] neg_lo:[0,0,1] neg_hi:[0,0,1]
	v_pk_mul_f32 v[94:95], v[64:65], s[48:49]
	v_mov_b32_e32 v101, v109
	v_mov_b32_e32 v103, v85
	v_pk_fma_f32 v[84:85], v[28:29], s[2:3], v[88:89] neg_lo:[0,0,1] neg_hi:[0,0,1]
	v_pk_add_f32 v[76:77], v[76:77], v[100:101]
	v_pk_fma_f32 v[100:101], v[54:55], s[46:47], v[94:95] neg_lo:[1,0,0] neg_hi:[1,0,0]
	v_pk_fma_f32 v[110:111], v[34:35], s[46:47], v[94:95]
	v_pk_add_f32 v[82:83], v[82:83], v[102:103]
	v_mov_b32_e32 v105, v85
	v_pk_fma_f32 v[84:85], v[30:31], s[6:7], v[90:91] neg_lo:[0,0,1] neg_hi:[0,0,1]
	v_pk_mul_f32 v[96:97], v[66:67], s[30:31]
	v_mov_b32_e32 v101, v111
	v_pk_add_f32 v[82:83], v[82:83], v[104:105]
	v_mov_b32_e32 v107, v85
	v_pk_fma_f32 v[84:85], v[32:33], s[50:51], v[92:93] neg_lo:[0,0,1] neg_hi:[0,0,1]
	v_pk_add_f32 v[76:77], v[76:77], v[100:101]
	v_pk_fma_f32 v[100:101], v[56:57], s[22:23], v[96:97] neg_lo:[1,0,0] neg_hi:[1,0,0]
	v_pk_fma_f32 v[112:113], v[36:37], s[22:23], v[96:97]
	v_pk_add_f32 v[82:83], v[82:83], v[106:107]
	v_mov_b32_e32 v109, v85
	v_pk_fma_f32 v[84:85], v[34:35], s[46:47], v[94:95] neg_lo:[0,0,1] neg_hi:[0,0,1]
	v_pk_mul_f32 v[98:99], v[68:69], s[36:37]
	v_mov_b32_e32 v101, v113
	v_pk_add_f32 v[82:83], v[82:83], v[108:109]
	v_mov_b32_e32 v111, v85
	v_pk_fma_f32 v[84:85], v[36:37], s[22:23], v[96:97] neg_lo:[0,0,1] neg_hi:[0,0,1]
	v_pk_add_f32 v[76:77], v[76:77], v[100:101]
	v_pk_fma_f32 v[100:101], v[58:59], s[28:29], v[98:99] op_sel:[1,0,0] neg_lo:[1,0,0] neg_hi:[1,0,0]
	v_pk_fma_f32 v[114:115], v[40:41], s[28:29], v[98:99]
	v_pk_add_f32 v[82:83], v[82:83], v[110:111]
	v_mov_b32_e32 v113, v85
	v_pk_fma_f32 v[84:85], v[40:41], s[28:29], v[98:99] neg_lo:[0,0,1] neg_hi:[0,0,1]
	v_mov_b32_e32 v101, v115
	v_pk_add_f32 v[82:83], v[82:83], v[112:113]
	v_mov_b32_e32 v115, v85
	v_pk_add_f32 v[82:83], v[82:83], v[114:115]
	global_store_dwordx2 v[80:81], v[82:83], off
	v_pk_mul_f32 v[82:83], v[4:5], s[44:45]
	v_pk_mul_f32 v[86:87], v[46:47], s[12:13]
	v_pk_fma_f32 v[80:81], v[2:3], s[40:41], v[82:83] neg_lo:[1,0,0] neg_hi:[1,0,0]
	v_pk_fma_f32 v[84:85], v[2:3], s[40:41], v[82:83]
	v_pk_add_f32 v[76:77], v[76:77], v[100:101]
	v_mov_b32_e32 v81, v85
	v_pk_fma_f32 v[100:101], v[38:39], s[2:3], v[86:87] neg_lo:[1,0,0] neg_hi:[1,0,0]
	v_pk_fma_f32 v[102:103], v[26:27], s[2:3], v[86:87]
	v_pk_add_f32 v[80:81], v[0:1], v[80:81]
	v_pk_mul_f32 v[88:89], v[52:53], s[38:39]
	s_mov_b32 s52, s39
	s_mov_b32 s53, s18
	v_mov_b32_e32 v101, v103
	v_pk_add_f32 v[80:81], v[80:81], v[100:101]
	v_pk_fma_f32 v[100:101], v[42:43], s[52:53], v[88:89] neg_lo:[1,0,0] neg_hi:[1,0,0]
	v_pk_fma_f32 v[104:105], v[28:29], s[52:53], v[88:89]
	v_pk_mul_f32 v[90:91], v[60:61], s[48:49]
	v_mov_b32_e32 v101, v105
	s_mov_b32 s43, 0x3f2c7751
	s_mov_b32 s42, s34
	v_pk_add_f32 v[80:81], v[80:81], v[100:101]
	v_pk_fma_f32 v[100:101], v[44:45], s[46:47], v[90:91] neg_lo:[1,0,0] neg_hi:[1,0,0]
	v_pk_fma_f32 v[106:107], v[30:31], s[46:47], v[90:91]
	v_pk_fma_f32 v[82:83], v[2:3], s[40:41], v[82:83] neg_lo:[0,0,1] neg_hi:[0,0,1]
	v_pk_mul_f32 v[92:93], v[62:63], s[42:43]
	s_mov_b32 s38, s43
	s_mov_b32 s39, s34
	v_mov_b32_e32 v101, v107
	v_mov_b32_e32 v85, v83
	v_pk_add_f32 v[80:81], v[80:81], v[100:101]
	v_pk_fma_f32 v[100:101], v[48:49], s[38:39], v[92:93] neg_lo:[1,0,0] neg_hi:[1,0,0]
	v_pk_fma_f32 v[108:109], v[32:33], s[38:39], v[92:93]
	v_pk_add_f32 v[82:83], v[0:1], v[84:85]
	v_pk_fma_f32 v[84:85], v[26:27], s[2:3], v[86:87] neg_lo:[0,0,1] neg_hi:[0,0,1]
	v_pk_mul_f32 v[94:95], v[64:65], s[20:21]
	v_mov_b32_e32 v101, v109
	v_mov_b32_e32 v103, v85
	v_pk_fma_f32 v[84:85], v[28:29], s[52:53], v[88:89] neg_lo:[0,0,1] neg_hi:[0,0,1]
	v_pk_add_f32 v[80:81], v[80:81], v[100:101]
	v_pk_fma_f32 v[100:101], v[54:55], s[10:11], v[94:95] neg_lo:[1,0,0] neg_hi:[1,0,0]
	v_pk_fma_f32 v[110:111], v[34:35], s[10:11], v[94:95]
	v_pk_add_f32 v[82:83], v[82:83], v[102:103]
	v_mov_b32_e32 v105, v85
	v_pk_fma_f32 v[84:85], v[30:31], s[46:47], v[90:91] neg_lo:[0,0,1] neg_hi:[0,0,1]
	v_pk_mul_f32 v[96:97], v[66:67], s[24:25]
	v_mov_b32_e32 v101, v111
	v_pk_add_f32 v[82:83], v[82:83], v[104:105]
	v_mov_b32_e32 v107, v85
	v_pk_fma_f32 v[84:85], v[32:33], s[38:39], v[92:93] neg_lo:[0,0,1] neg_hi:[0,0,1]
	v_pk_add_f32 v[80:81], v[80:81], v[100:101]
	v_pk_fma_f32 v[100:101], v[56:57], s[16:17], v[96:97] neg_lo:[1,0,0] neg_hi:[1,0,0]
	v_pk_fma_f32 v[112:113], v[36:37], s[16:17], v[96:97]
	v_pk_add_f32 v[82:83], v[82:83], v[106:107]
	v_mov_b32_e32 v109, v85
	v_pk_fma_f32 v[84:85], v[34:35], s[10:11], v[94:95] neg_lo:[0,0,1] neg_hi:[0,0,1]
	v_pk_mul_f32 v[98:99], v[68:69], s[14:15]
	v_mov_b32_e32 v101, v113
	v_pk_add_f32 v[82:83], v[82:83], v[108:109]
	v_mov_b32_e32 v111, v85
	v_pk_fma_f32 v[84:85], v[36:37], s[16:17], v[96:97] neg_lo:[0,0,1] neg_hi:[0,0,1]
	v_pk_add_f32 v[80:81], v[80:81], v[100:101]
	v_pk_fma_f32 v[100:101], v[58:59], s[4:5], v[98:99] op_sel:[1,0,0] neg_lo:[1,0,0] neg_hi:[1,0,0]
	v_pk_fma_f32 v[114:115], v[40:41], s[4:5], v[98:99]
	v_pk_add_f32 v[82:83], v[82:83], v[110:111]
	v_mov_b32_e32 v113, v85
	v_pk_fma_f32 v[84:85], v[40:41], s[4:5], v[98:99] neg_lo:[0,0,1] neg_hi:[0,0,1]
	v_mov_b32_e32 v101, v115
	v_pk_add_f32 v[82:83], v[82:83], v[112:113]
	v_mov_b32_e32 v115, v85
	v_pk_add_f32 v[82:83], v[82:83], v[114:115]
	global_store_dwordx2 v[78:79], v[82:83], off
	v_pk_mul_f32 v[82:83], v[4:5], s[24:25]
	v_pk_mul_f32 v[86:87], v[46:47], s[18:19]
	v_pk_fma_f32 v[78:79], v[2:3], s[16:17], v[82:83] neg_lo:[1,0,0] neg_hi:[1,0,0]
	v_pk_fma_f32 v[84:85], v[2:3], s[16:17], v[82:83]
	v_pk_add_f32 v[80:81], v[80:81], v[100:101]
	v_mov_b32_e32 v79, v85
	v_pk_fma_f32 v[100:101], v[38:39], s[6:7], v[86:87] neg_lo:[1,0,0] neg_hi:[1,0,0]
	v_pk_fma_f32 v[102:103], v[26:27], s[6:7], v[86:87]
	v_pk_add_f32 v[78:79], v[0:1], v[78:79]
	v_pk_mul_f32 v[88:89], v[52:53], s[48:49]
	v_mov_b32_e32 v101, v103
	v_pk_add_f32 v[78:79], v[78:79], v[100:101]
	v_pk_fma_f32 v[100:101], v[42:43], s[46:47], v[88:89] neg_lo:[1,0,0] neg_hi:[1,0,0]
	v_pk_fma_f32 v[104:105], v[28:29], s[46:47], v[88:89]
	v_pk_mul_f32 v[90:91], v[60:61], s[36:37]
	v_mov_b32_e32 v101, v105
	v_pk_add_f32 v[78:79], v[78:79], v[100:101]
	v_pk_fma_f32 v[100:101], v[44:45], s[28:29], v[90:91] neg_lo:[1,0,0] neg_hi:[1,0,0]
	v_pk_fma_f32 v[106:107], v[30:31], s[28:29], v[90:91]
	v_pk_fma_f32 v[82:83], v[2:3], s[16:17], v[82:83] neg_lo:[0,0,1] neg_hi:[0,0,1]
	v_pk_mul_f32 v[92:93], v[62:63], s[44:45]
	v_mov_b32_e32 v101, v107
	v_mov_b32_e32 v85, v83
	v_pk_add_f32 v[78:79], v[78:79], v[100:101]
	v_pk_fma_f32 v[100:101], v[48:49], s[40:41], v[92:93] neg_lo:[1,0,0] neg_hi:[1,0,0]
	v_pk_fma_f32 v[108:109], v[32:33], s[40:41], v[92:93]
	v_pk_add_f32 v[82:83], v[0:1], v[84:85]
	v_pk_fma_f32 v[84:85], v[26:27], s[6:7], v[86:87] neg_lo:[0,0,1] neg_hi:[0,0,1]
	v_pk_mul_f32 v[94:95], v[64:65], s[14:15]
	v_mov_b32_e32 v101, v109
	v_mov_b32_e32 v103, v85
	v_pk_fma_f32 v[84:85], v[28:29], s[46:47], v[88:89] neg_lo:[0,0,1] neg_hi:[0,0,1]
	s_mov_b32 s57, 0x3f4c4adb
	s_mov_b32 s56, s12
	v_pk_add_f32 v[78:79], v[78:79], v[100:101]
	v_pk_fma_f32 v[100:101], v[54:55], s[4:5], v[94:95] neg_lo:[1,0,0] neg_hi:[1,0,0]
	v_pk_fma_f32 v[110:111], v[34:35], s[4:5], v[94:95]
	v_pk_add_f32 v[82:83], v[82:83], v[102:103]
	v_mov_b32_e32 v105, v85
	v_pk_fma_f32 v[84:85], v[30:31], s[28:29], v[90:91] neg_lo:[0,0,1] neg_hi:[0,0,1]
	v_pk_mul_f32 v[96:97], v[66:67], s[56:57]
	s_mov_b32 s52, s57
	s_mov_b32 s53, s12
	v_mov_b32_e32 v101, v111
	v_pk_add_f32 v[82:83], v[82:83], v[104:105]
	v_mov_b32_e32 v107, v85
	v_pk_fma_f32 v[84:85], v[32:33], s[40:41], v[92:93] neg_lo:[0,0,1] neg_hi:[0,0,1]
	v_pk_add_f32 v[78:79], v[78:79], v[100:101]
	v_pk_fma_f32 v[100:101], v[56:57], s[52:53], v[96:97] neg_lo:[1,0,0] neg_hi:[1,0,0]
	v_pk_fma_f32 v[112:113], v[36:37], s[52:53], v[96:97]
	v_pk_add_f32 v[82:83], v[82:83], v[106:107]
	v_mov_b32_e32 v109, v85
	v_pk_fma_f32 v[84:85], v[34:35], s[4:5], v[94:95] neg_lo:[0,0,1] neg_hi:[0,0,1]
	v_pk_mul_f32 v[98:99], v[68:69], s[42:43]
	v_mov_b32_e32 v101, v113
	v_pk_add_f32 v[82:83], v[82:83], v[108:109]
	v_mov_b32_e32 v111, v85
	v_pk_fma_f32 v[84:85], v[36:37], s[52:53], v[96:97] neg_lo:[0,0,1] neg_hi:[0,0,1]
	v_pk_add_f32 v[78:79], v[78:79], v[100:101]
	v_pk_fma_f32 v[100:101], v[58:59], s[38:39], v[98:99] op_sel:[1,0,0] neg_lo:[1,0,0] neg_hi:[1,0,0]
	v_pk_fma_f32 v[114:115], v[40:41], s[38:39], v[98:99]
	v_pk_add_f32 v[82:83], v[82:83], v[110:111]
	v_mov_b32_e32 v113, v85
	v_pk_fma_f32 v[84:85], v[40:41], s[38:39], v[98:99] neg_lo:[0,0,1] neg_hi:[0,0,1]
	v_mov_b32_e32 v101, v115
	v_pk_add_f32 v[82:83], v[82:83], v[112:113]
	v_mov_b32_e32 v115, v85
	v_pk_add_f32 v[82:83], v[82:83], v[114:115]
	global_store_dwordx2 v[74:75], v[82:83], off
	v_pk_mul_f32 v[82:83], v[4:5], s[8:9]
	v_pk_mul_f32 v[86:87], v[46:47], s[54:55]
	v_pk_fma_f32 v[74:75], v[2:3], s[0:1], v[82:83] neg_lo:[1,0,0] neg_hi:[1,0,0]
	v_pk_fma_f32 v[84:85], v[2:3], s[0:1], v[82:83]
	v_pk_add_f32 v[78:79], v[78:79], v[100:101]
	v_mov_b32_e32 v75, v85
	v_pk_fma_f32 v[100:101], v[38:39], s[50:51], v[86:87] neg_lo:[1,0,0] neg_hi:[1,0,0]
	v_pk_fma_f32 v[102:103], v[26:27], s[50:51], v[86:87]
	v_pk_add_f32 v[74:75], v[0:1], v[74:75]
	v_pk_mul_f32 v[88:89], v[52:53], s[42:43]
	v_mov_b32_e32 v101, v103
	v_pk_add_f32 v[74:75], v[74:75], v[100:101]
	v_pk_fma_f32 v[100:101], v[42:43], s[38:39], v[88:89] neg_lo:[1,0,0] neg_hi:[1,0,0]
	v_pk_fma_f32 v[104:105], v[28:29], s[38:39], v[88:89]
	v_pk_mul_f32 v[90:91], v[60:61], s[44:45]
	v_mov_b32_e32 v101, v105
	v_pk_add_f32 v[74:75], v[74:75], v[100:101]
	v_pk_fma_f32 v[100:101], v[44:45], s[40:41], v[90:91] neg_lo:[1,0,0] neg_hi:[1,0,0]
	v_pk_fma_f32 v[106:107], v[30:31], s[40:41], v[90:91]
	v_pk_fma_f32 v[82:83], v[2:3], s[0:1], v[82:83] neg_lo:[0,0,1] neg_hi:[0,0,1]
	v_pk_mul_f32 v[92:93], v[62:63], s[18:19]
	v_mov_b32_e32 v101, v107
	v_mov_b32_e32 v85, v83
	s_mov_b32 s55, 0x3f7ee86f
	s_mov_b32 s54, s24
	v_pk_add_f32 v[74:75], v[74:75], v[100:101]
	v_pk_fma_f32 v[100:101], v[48:49], s[6:7], v[92:93] neg_lo:[1,0,0] neg_hi:[1,0,0]
	v_pk_fma_f32 v[108:109], v[32:33], s[6:7], v[92:93]
	v_pk_add_f32 v[82:83], v[0:1], v[84:85]
	v_pk_fma_f32 v[84:85], v[26:27], s[50:51], v[86:87] neg_lo:[0,0,1] neg_hi:[0,0,1]
	v_pk_mul_f32 v[94:95], v[64:65], s[54:55]
	s_mov_b32 s44, s55
	s_mov_b32 s45, s24
	v_mov_b32_e32 v101, v109
	v_mov_b32_e32 v103, v85
	v_pk_fma_f32 v[84:85], v[28:29], s[38:39], v[88:89] neg_lo:[0,0,1] neg_hi:[0,0,1]
	v_pk_add_f32 v[74:75], v[74:75], v[100:101]
	v_pk_fma_f32 v[100:101], v[54:55], s[44:45], v[94:95] neg_lo:[1,0,0] neg_hi:[1,0,0]
	v_pk_fma_f32 v[110:111], v[34:35], s[44:45], v[94:95]
	v_pk_add_f32 v[82:83], v[82:83], v[102:103]
	v_mov_b32_e32 v105, v85
	v_pk_fma_f32 v[84:85], v[30:31], s[40:41], v[90:91] neg_lo:[0,0,1] neg_hi:[0,0,1]
	v_pk_mul_f32 v[96:97], v[66:67], s[20:21]
	v_mov_b32_e32 v101, v111
	v_pk_add_f32 v[82:83], v[82:83], v[104:105]
	v_mov_b32_e32 v107, v85
	v_pk_fma_f32 v[84:85], v[32:33], s[6:7], v[92:93] neg_lo:[0,0,1] neg_hi:[0,0,1]
	v_pk_add_f32 v[74:75], v[74:75], v[100:101]
	v_pk_fma_f32 v[100:101], v[56:57], s[10:11], v[96:97] neg_lo:[1,0,0] neg_hi:[1,0,0]
	v_pk_fma_f32 v[112:113], v[36:37], s[10:11], v[96:97]
	v_pk_add_f32 v[82:83], v[82:83], v[106:107]
	v_mov_b32_e32 v109, v85
	v_pk_fma_f32 v[84:85], v[34:35], s[44:45], v[94:95] neg_lo:[0,0,1] neg_hi:[0,0,1]
	v_pk_mul_f32 v[98:99], v[68:69], s[12:13]
	v_mov_b32_e32 v101, v113
	v_pk_add_f32 v[82:83], v[82:83], v[108:109]
	v_mov_b32_e32 v111, v85
	v_pk_fma_f32 v[84:85], v[36:37], s[10:11], v[96:97] neg_lo:[0,0,1] neg_hi:[0,0,1]
	v_pk_add_f32 v[74:75], v[74:75], v[100:101]
	v_pk_fma_f32 v[100:101], v[58:59], s[2:3], v[98:99] op_sel:[1,0,0] neg_lo:[1,0,0] neg_hi:[1,0,0]
	v_pk_fma_f32 v[114:115], v[40:41], s[2:3], v[98:99]
	v_pk_add_f32 v[82:83], v[82:83], v[110:111]
	v_mov_b32_e32 v113, v85
	v_pk_fma_f32 v[84:85], v[40:41], s[2:3], v[98:99] neg_lo:[0,0,1] neg_hi:[0,0,1]
	v_mov_b32_e32 v101, v115
	v_pk_add_f32 v[82:83], v[82:83], v[112:113]
	v_mov_b32_e32 v115, v85
	v_pk_add_f32 v[82:83], v[82:83], v[114:115]
	global_store_dwordx2 v[70:71], v[82:83], off
	v_pk_mul_f32 v[70:71], v[4:5], s[12:13]
	v_pk_mul_f32 v[86:87], v[46:47], s[48:49]
	v_pk_fma_f32 v[82:83], v[2:3], s[2:3], v[70:71] neg_lo:[1,0,0] neg_hi:[1,0,0]
	v_pk_fma_f32 v[84:85], v[2:3], s[2:3], v[70:71]
	v_pk_add_f32 v[74:75], v[74:75], v[100:101]
	v_mov_b32_e32 v83, v85
	v_pk_fma_f32 v[100:101], v[38:39], s[46:47], v[86:87] neg_lo:[1,0,0] neg_hi:[1,0,0]
	v_pk_fma_f32 v[102:103], v[26:27], s[46:47], v[86:87]
	v_pk_add_f32 v[82:83], v[0:1], v[82:83]
	v_pk_mul_f32 v[88:89], v[52:53], s[20:21]
	v_mov_b32_e32 v101, v103
	v_pk_add_f32 v[82:83], v[82:83], v[100:101]
	v_pk_fma_f32 v[100:101], v[42:43], s[10:11], v[88:89] neg_lo:[1,0,0] neg_hi:[1,0,0]
	v_pk_fma_f32 v[104:105], v[28:29], s[10:11], v[88:89]
	v_pk_mul_f32 v[90:91], v[60:61], s[14:15]
	v_mov_b32_e32 v101, v105
	v_pk_add_f32 v[82:83], v[82:83], v[100:101]
	v_pk_fma_f32 v[100:101], v[44:45], s[4:5], v[90:91] neg_lo:[1,0,0] neg_hi:[1,0,0]
	v_pk_fma_f32 v[106:107], v[30:31], s[4:5], v[90:91]
	v_pk_fma_f32 v[70:71], v[2:3], s[2:3], v[70:71] neg_lo:[0,0,1] neg_hi:[0,0,1]
	v_pk_mul_f32 v[92:93], v[62:63], s[54:55]
	v_mov_b32_e32 v101, v107
	v_mov_b32_e32 v85, v71
	v_pk_add_f32 v[82:83], v[82:83], v[100:101]
	v_pk_fma_f32 v[100:101], v[48:49], s[44:45], v[92:93] neg_lo:[1,0,0] neg_hi:[1,0,0]
	v_pk_fma_f32 v[108:109], v[32:33], s[44:45], v[92:93]
	v_pk_add_f32 v[70:71], v[0:1], v[84:85]
	v_pk_fma_f32 v[84:85], v[26:27], s[46:47], v[86:87] neg_lo:[0,0,1] neg_hi:[0,0,1]
	v_pk_mul_f32 v[94:95], v[64:65], s[34:35]
	v_mov_b32_e32 v101, v109
	v_mov_b32_e32 v103, v85
	v_pk_fma_f32 v[84:85], v[28:29], s[10:11], v[88:89] neg_lo:[0,0,1] neg_hi:[0,0,1]
	v_pk_add_f32 v[82:83], v[82:83], v[100:101]
	v_pk_fma_f32 v[100:101], v[54:55], s[26:27], v[94:95] neg_lo:[1,0,0] neg_hi:[1,0,0]
	v_pk_fma_f32 v[110:111], v[34:35], s[26:27], v[94:95]
	v_pk_add_f32 v[70:71], v[70:71], v[102:103]
	v_mov_b32_e32 v105, v85
	v_pk_fma_f32 v[84:85], v[30:31], s[4:5], v[90:91] neg_lo:[0,0,1] neg_hi:[0,0,1]
	v_pk_mul_f32 v[96:97], v[66:67], s[18:19]
	v_mov_b32_e32 v101, v111
	v_pk_add_f32 v[70:71], v[70:71], v[104:105]
	v_mov_b32_e32 v107, v85
	v_pk_fma_f32 v[84:85], v[32:33], s[44:45], v[92:93] neg_lo:[0,0,1] neg_hi:[0,0,1]
	v_pk_add_f32 v[82:83], v[82:83], v[100:101]
	v_pk_fma_f32 v[100:101], v[56:57], s[6:7], v[96:97] neg_lo:[1,0,0] neg_hi:[1,0,0]
	v_pk_fma_f32 v[112:113], v[36:37], s[6:7], v[96:97]
	v_pk_add_f32 v[70:71], v[70:71], v[106:107]
	v_mov_b32_e32 v109, v85
	v_pk_fma_f32 v[84:85], v[34:35], s[26:27], v[94:95] neg_lo:[0,0,1] neg_hi:[0,0,1]
	v_pk_mul_f32 v[98:99], v[68:69], s[30:31]
	v_mov_b32_e32 v101, v113
	v_pk_add_f32 v[70:71], v[70:71], v[108:109]
	v_mov_b32_e32 v111, v85
	v_pk_fma_f32 v[84:85], v[36:37], s[6:7], v[96:97] neg_lo:[0,0,1] neg_hi:[0,0,1]
	v_pk_add_f32 v[82:83], v[82:83], v[100:101]
	v_pk_fma_f32 v[100:101], v[58:59], s[22:23], v[98:99] op_sel:[1,0,0] neg_lo:[1,0,0] neg_hi:[1,0,0]
	v_pk_fma_f32 v[114:115], v[40:41], s[22:23], v[98:99]
	v_pk_add_f32 v[70:71], v[70:71], v[110:111]
	v_mov_b32_e32 v113, v85
	v_pk_fma_f32 v[84:85], v[40:41], s[22:23], v[98:99] neg_lo:[0,0,1] neg_hi:[0,0,1]
	v_mov_b32_e32 v101, v115
	v_pk_add_f32 v[70:71], v[70:71], v[112:113]
	v_mov_b32_e32 v115, v85
	v_pk_add_f32 v[70:71], v[70:71], v[114:115]
	global_store_dwordx2 v[50:51], v[70:71], off
	v_pk_mul_f32 v[50:51], v[4:5], s[14:15]
	v_pk_mul_f32 v[86:87], v[46:47], s[30:31]
	v_pk_fma_f32 v[70:71], v[2:3], s[4:5], v[50:51] neg_lo:[1,0,0] neg_hi:[1,0,0]
	v_pk_fma_f32 v[84:85], v[2:3], s[4:5], v[50:51]
	v_pk_add_f32 v[82:83], v[82:83], v[100:101]
	v_mov_b32_e32 v71, v85
	v_pk_fma_f32 v[100:101], v[38:39], s[22:23], v[86:87] neg_lo:[1,0,0] neg_hi:[1,0,0]
	v_pk_fma_f32 v[102:103], v[26:27], s[22:23], v[86:87]
	v_pk_add_f32 v[70:71], v[0:1], v[70:71]
	v_pk_mul_f32 v[88:89], v[52:53], s[24:25]
	v_mov_b32_e32 v101, v103
	v_pk_add_f32 v[70:71], v[70:71], v[100:101]
	v_pk_fma_f32 v[100:101], v[42:43], s[16:17], v[88:89] neg_lo:[1,0,0] neg_hi:[1,0,0]
	v_pk_fma_f32 v[104:105], v[28:29], s[16:17], v[88:89]
	v_pk_mul_f32 v[90:91], v[60:61], s[56:57]
	v_mov_b32_e32 v101, v105
	v_pk_add_f32 v[70:71], v[70:71], v[100:101]
	v_pk_fma_f32 v[100:101], v[44:45], s[52:53], v[90:91] neg_lo:[1,0,0] neg_hi:[1,0,0]
	v_pk_fma_f32 v[106:107], v[30:31], s[52:53], v[90:91]
	v_pk_fma_f32 v[50:51], v[2:3], s[4:5], v[50:51] neg_lo:[0,0,1] neg_hi:[0,0,1]
	v_pk_mul_f32 v[92:93], v[62:63], s[20:21]
	v_mov_b32_e32 v101, v107
	v_mov_b32_e32 v85, v51
	v_pk_add_f32 v[70:71], v[70:71], v[100:101]
	v_pk_fma_f32 v[100:101], v[48:49], s[10:11], v[92:93] neg_lo:[1,0,0] neg_hi:[1,0,0]
	v_pk_fma_f32 v[108:109], v[32:33], s[10:11], v[92:93]
	v_pk_add_f32 v[50:51], v[0:1], v[84:85]
	v_pk_fma_f32 v[84:85], v[26:27], s[22:23], v[86:87] neg_lo:[0,0,1] neg_hi:[0,0,1]
	v_pk_mul_f32 v[94:95], v[64:65], s[18:19]
	v_mov_b32_e32 v101, v109
	v_mov_b32_e32 v103, v85
	v_pk_fma_f32 v[84:85], v[28:29], s[16:17], v[88:89] neg_lo:[0,0,1] neg_hi:[0,0,1]
	v_pk_add_f32 v[70:71], v[70:71], v[100:101]
	v_pk_fma_f32 v[100:101], v[54:55], s[6:7], v[94:95] neg_lo:[1,0,0] neg_hi:[1,0,0]
	v_pk_fma_f32 v[110:111], v[34:35], s[6:7], v[94:95]
	v_pk_add_f32 v[50:51], v[50:51], v[102:103]
	v_mov_b32_e32 v105, v85
	v_pk_fma_f32 v[84:85], v[30:31], s[52:53], v[90:91] neg_lo:[0,0,1] neg_hi:[0,0,1]
	v_pk_mul_f32 v[96:97], v[66:67], s[42:43]
	v_mov_b32_e32 v101, v111
	v_pk_add_f32 v[50:51], v[50:51], v[104:105]
	v_mov_b32_e32 v107, v85
	v_pk_fma_f32 v[84:85], v[32:33], s[10:11], v[92:93] neg_lo:[0,0,1] neg_hi:[0,0,1]
	v_pk_add_f32 v[70:71], v[70:71], v[100:101]
	v_pk_fma_f32 v[100:101], v[56:57], s[38:39], v[96:97] neg_lo:[1,0,0] neg_hi:[1,0,0]
	v_pk_fma_f32 v[112:113], v[36:37], s[38:39], v[96:97]
	v_pk_add_f32 v[50:51], v[50:51], v[106:107]
	v_mov_b32_e32 v109, v85
	v_pk_fma_f32 v[84:85], v[34:35], s[6:7], v[94:95] neg_lo:[0,0,1] neg_hi:[0,0,1]
	v_pk_mul_f32 v[98:99], v[68:69], s[8:9]
	v_mov_b32_e32 v101, v113
	v_pk_add_f32 v[50:51], v[50:51], v[108:109]
	v_mov_b32_e32 v111, v85
	v_pk_fma_f32 v[84:85], v[36:37], s[38:39], v[96:97] neg_lo:[0,0,1] neg_hi:[0,0,1]
	v_pk_add_f32 v[70:71], v[70:71], v[100:101]
	v_pk_fma_f32 v[100:101], v[58:59], s[0:1], v[98:99] op_sel:[1,0,0] neg_lo:[1,0,0] neg_hi:[1,0,0]
	v_pk_fma_f32 v[114:115], v[40:41], s[0:1], v[98:99]
	v_pk_add_f32 v[50:51], v[50:51], v[110:111]
	v_mov_b32_e32 v113, v85
	v_pk_fma_f32 v[84:85], v[40:41], s[0:1], v[98:99] neg_lo:[0,0,1] neg_hi:[0,0,1]
	v_mov_b32_e32 v101, v115
	v_pk_add_f32 v[50:51], v[50:51], v[112:113]
	v_mov_b32_e32 v115, v85
	v_pk_add_f32 v[50:51], v[50:51], v[114:115]
	v_pk_mul_f32 v[4:5], v[4:5], s[18:19]
	global_store_dwordx2 v[24:25], v[50:51], off
	v_pk_fma_f32 v[24:25], v[2:3], s[6:7], v[4:5] neg_lo:[1,0,0] neg_hi:[1,0,0]
	v_pk_fma_f32 v[50:51], v[2:3], s[6:7], v[4:5]
	v_pk_mul_f32 v[46:47], v[46:47], s[36:37]
	v_mov_b32_e32 v25, v51
	v_pk_fma_f32 v[38:39], v[38:39], s[28:29], v[46:47] neg_lo:[1,0,0] neg_hi:[1,0,0]
	v_pk_fma_f32 v[84:85], v[26:27], s[28:29], v[46:47]
	v_pk_add_f32 v[24:25], v[0:1], v[24:25]
	v_pk_mul_f32 v[52:53], v[52:53], s[14:15]
	v_mov_b32_e32 v39, v85
	v_pk_add_f32 v[24:25], v[24:25], v[38:39]
	v_pk_fma_f32 v[38:39], v[42:43], s[4:5], v[52:53] neg_lo:[1,0,0] neg_hi:[1,0,0]
	v_pk_fma_f32 v[42:43], v[28:29], s[4:5], v[52:53]
	v_pk_mul_f32 v[60:61], v[60:61], s[42:43]
	v_mov_b32_e32 v39, v43
	v_pk_add_f32 v[24:25], v[24:25], v[38:39]
	v_pk_fma_f32 v[38:39], v[44:45], s[38:39], v[60:61] neg_lo:[1,0,0] neg_hi:[1,0,0]
	v_pk_fma_f32 v[44:45], v[30:31], s[38:39], v[60:61]
	v_pk_mul_f32 v[62:63], v[62:63], s[12:13]
	v_mov_b32_e32 v39, v45
	v_pk_fma_f32 v[2:3], v[2:3], s[6:7], v[4:5] neg_lo:[0,0,1] neg_hi:[0,0,1]
	v_pk_add_f32 v[24:25], v[24:25], v[38:39]
	v_pk_fma_f32 v[38:39], v[48:49], s[2:3], v[62:63] neg_lo:[1,0,0] neg_hi:[1,0,0]
	v_pk_fma_f32 v[48:49], v[32:33], s[2:3], v[62:63]
	v_mov_b32_e32 v51, v3
	v_pk_fma_f32 v[2:3], v[26:27], s[28:29], v[46:47] neg_lo:[0,0,1] neg_hi:[0,0,1]
	v_pk_mul_f32 v[64:65], v[64:65], s[30:31]
	v_mov_b32_e32 v39, v49
	v_pk_add_f32 v[0:1], v[0:1], v[50:51]
	v_mov_b32_e32 v85, v3
	v_pk_fma_f32 v[2:3], v[28:29], s[4:5], v[52:53] neg_lo:[0,0,1] neg_hi:[0,0,1]
	v_pk_add_f32 v[24:25], v[24:25], v[38:39]
	v_pk_fma_f32 v[38:39], v[54:55], s[22:23], v[64:65] neg_lo:[1,0,0] neg_hi:[1,0,0]
	v_pk_fma_f32 v[54:55], v[34:35], s[22:23], v[64:65]
	v_pk_add_f32 v[0:1], v[0:1], v[84:85]
	v_mov_b32_e32 v43, v3
	v_pk_fma_f32 v[2:3], v[30:31], s[38:39], v[60:61] neg_lo:[0,0,1] neg_hi:[0,0,1]
	v_pk_mul_f32 v[66:67], v[66:67], s[8:9]
	v_mov_b32_e32 v39, v55
	v_pk_add_f32 v[0:1], v[0:1], v[42:43]
	v_mov_b32_e32 v45, v3
	v_pk_fma_f32 v[2:3], v[32:33], s[2:3], v[62:63] neg_lo:[0,0,1] neg_hi:[0,0,1]
	v_pk_add_f32 v[24:25], v[24:25], v[38:39]
	v_pk_fma_f32 v[38:39], v[56:57], s[0:1], v[66:67] neg_lo:[1,0,0] neg_hi:[1,0,0]
	v_pk_fma_f32 v[56:57], v[36:37], s[0:1], v[66:67]
	v_pk_add_f32 v[0:1], v[0:1], v[44:45]
	v_mov_b32_e32 v49, v3
	v_pk_fma_f32 v[2:3], v[34:35], s[22:23], v[64:65] neg_lo:[0,0,1] neg_hi:[0,0,1]
	v_pk_mul_f32 v[68:69], v[68:69], s[54:55]
	v_mov_b32_e32 v39, v57
	v_pk_add_f32 v[0:1], v[0:1], v[48:49]
	v_mov_b32_e32 v55, v3
	v_pk_fma_f32 v[2:3], v[36:37], s[0:1], v[66:67] neg_lo:[0,0,1] neg_hi:[0,0,1]
	v_pk_add_f32 v[24:25], v[24:25], v[38:39]
	v_pk_fma_f32 v[38:39], v[58:59], s[44:45], v[68:69] op_sel:[1,0,0] neg_lo:[1,0,0] neg_hi:[1,0,0]
	v_pk_fma_f32 v[58:59], v[40:41], s[44:45], v[68:69]
	v_pk_add_f32 v[0:1], v[0:1], v[54:55]
	v_mov_b32_e32 v57, v3
	v_pk_fma_f32 v[2:3], v[40:41], s[44:45], v[68:69] neg_lo:[0,0,1] neg_hi:[0,0,1]
	v_mov_b32_e32 v39, v59
	v_pk_add_f32 v[0:1], v[0:1], v[56:57]
	v_mov_b32_e32 v59, v3
	v_pk_add_f32 v[0:1], v[0:1], v[58:59]
	v_pk_add_f32 v[70:71], v[70:71], v[100:101]
	;; [unrolled: 1-line block ×3, first 2 shown]
	global_store_dwordx2 v[6:7], v[0:1], off
	global_store_dwordx2 v[8:9], v[24:25], off
	;; [unrolled: 1-line block ×9, first 2 shown]
.LBB0_23:
	s_endpgm
	.section	.rodata,"a",@progbits
	.p2align	6, 0x0
	.amdhsa_kernel fft_rtc_back_len1445_factors_17_5_17_wgs_85_tpt_85_halfLds_sp_op_CI_CI_sbrr_dirReg
		.amdhsa_group_segment_fixed_size 0
		.amdhsa_private_segment_fixed_size 0
		.amdhsa_kernarg_size 104
		.amdhsa_user_sgpr_count 2
		.amdhsa_user_sgpr_dispatch_ptr 0
		.amdhsa_user_sgpr_queue_ptr 0
		.amdhsa_user_sgpr_kernarg_segment_ptr 1
		.amdhsa_user_sgpr_dispatch_id 0
		.amdhsa_user_sgpr_kernarg_preload_length 0
		.amdhsa_user_sgpr_kernarg_preload_offset 0
		.amdhsa_user_sgpr_private_segment_size 0
		.amdhsa_uses_dynamic_stack 0
		.amdhsa_enable_private_segment 0
		.amdhsa_system_sgpr_workgroup_id_x 1
		.amdhsa_system_sgpr_workgroup_id_y 0
		.amdhsa_system_sgpr_workgroup_id_z 0
		.amdhsa_system_sgpr_workgroup_info 0
		.amdhsa_system_vgpr_workitem_id 0
		.amdhsa_next_free_vgpr 124
		.amdhsa_next_free_sgpr 90
		.amdhsa_accum_offset 124
		.amdhsa_reserve_vcc 1
		.amdhsa_float_round_mode_32 0
		.amdhsa_float_round_mode_16_64 0
		.amdhsa_float_denorm_mode_32 3
		.amdhsa_float_denorm_mode_16_64 3
		.amdhsa_dx10_clamp 1
		.amdhsa_ieee_mode 1
		.amdhsa_fp16_overflow 0
		.amdhsa_tg_split 0
		.amdhsa_exception_fp_ieee_invalid_op 0
		.amdhsa_exception_fp_denorm_src 0
		.amdhsa_exception_fp_ieee_div_zero 0
		.amdhsa_exception_fp_ieee_overflow 0
		.amdhsa_exception_fp_ieee_underflow 0
		.amdhsa_exception_fp_ieee_inexact 0
		.amdhsa_exception_int_div_zero 0
	.end_amdhsa_kernel
	.text
.Lfunc_end0:
	.size	fft_rtc_back_len1445_factors_17_5_17_wgs_85_tpt_85_halfLds_sp_op_CI_CI_sbrr_dirReg, .Lfunc_end0-fft_rtc_back_len1445_factors_17_5_17_wgs_85_tpt_85_halfLds_sp_op_CI_CI_sbrr_dirReg
                                        ; -- End function
	.section	.AMDGPU.csdata,"",@progbits
; Kernel info:
; codeLenInByte = 15712
; NumSgprs: 96
; NumVgprs: 124
; NumAgprs: 0
; TotalNumVgprs: 124
; ScratchSize: 0
; MemoryBound: 0
; FloatMode: 240
; IeeeMode: 1
; LDSByteSize: 0 bytes/workgroup (compile time only)
; SGPRBlocks: 11
; VGPRBlocks: 15
; NumSGPRsForWavesPerEU: 96
; NumVGPRsForWavesPerEU: 124
; AccumOffset: 124
; Occupancy: 4
; WaveLimiterHint : 1
; COMPUTE_PGM_RSRC2:SCRATCH_EN: 0
; COMPUTE_PGM_RSRC2:USER_SGPR: 2
; COMPUTE_PGM_RSRC2:TRAP_HANDLER: 0
; COMPUTE_PGM_RSRC2:TGID_X_EN: 1
; COMPUTE_PGM_RSRC2:TGID_Y_EN: 0
; COMPUTE_PGM_RSRC2:TGID_Z_EN: 0
; COMPUTE_PGM_RSRC2:TIDIG_COMP_CNT: 0
; COMPUTE_PGM_RSRC3_GFX90A:ACCUM_OFFSET: 30
; COMPUTE_PGM_RSRC3_GFX90A:TG_SPLIT: 0
	.text
	.p2alignl 6, 3212836864
	.fill 256, 4, 3212836864
	.type	__hip_cuid_3806d56c7bc882ef,@object ; @__hip_cuid_3806d56c7bc882ef
	.section	.bss,"aw",@nobits
	.globl	__hip_cuid_3806d56c7bc882ef
__hip_cuid_3806d56c7bc882ef:
	.byte	0                               ; 0x0
	.size	__hip_cuid_3806d56c7bc882ef, 1

	.ident	"AMD clang version 19.0.0git (https://github.com/RadeonOpenCompute/llvm-project roc-6.4.0 25133 c7fe45cf4b819c5991fe208aaa96edf142730f1d)"
	.section	".note.GNU-stack","",@progbits
	.addrsig
	.addrsig_sym __hip_cuid_3806d56c7bc882ef
	.amdgpu_metadata
---
amdhsa.kernels:
  - .agpr_count:     0
    .args:
      - .actual_access:  read_only
        .address_space:  global
        .offset:         0
        .size:           8
        .value_kind:     global_buffer
      - .offset:         8
        .size:           8
        .value_kind:     by_value
      - .actual_access:  read_only
        .address_space:  global
        .offset:         16
        .size:           8
        .value_kind:     global_buffer
      - .actual_access:  read_only
        .address_space:  global
        .offset:         24
        .size:           8
        .value_kind:     global_buffer
      - .actual_access:  read_only
        .address_space:  global
        .offset:         32
        .size:           8
        .value_kind:     global_buffer
      - .offset:         40
        .size:           8
        .value_kind:     by_value
      - .actual_access:  read_only
        .address_space:  global
        .offset:         48
        .size:           8
        .value_kind:     global_buffer
      - .actual_access:  read_only
        .address_space:  global
        .offset:         56
        .size:           8
        .value_kind:     global_buffer
      - .offset:         64
        .size:           4
        .value_kind:     by_value
      - .actual_access:  read_only
        .address_space:  global
        .offset:         72
        .size:           8
        .value_kind:     global_buffer
      - .actual_access:  read_only
        .address_space:  global
        .offset:         80
        .size:           8
        .value_kind:     global_buffer
      - .actual_access:  read_only
        .address_space:  global
        .offset:         88
        .size:           8
        .value_kind:     global_buffer
      - .actual_access:  write_only
        .address_space:  global
        .offset:         96
        .size:           8
        .value_kind:     global_buffer
    .group_segment_fixed_size: 0
    .kernarg_segment_align: 8
    .kernarg_segment_size: 104
    .language:       OpenCL C
    .language_version:
      - 2
      - 0
    .max_flat_workgroup_size: 85
    .name:           fft_rtc_back_len1445_factors_17_5_17_wgs_85_tpt_85_halfLds_sp_op_CI_CI_sbrr_dirReg
    .private_segment_fixed_size: 0
    .sgpr_count:     96
    .sgpr_spill_count: 0
    .symbol:         fft_rtc_back_len1445_factors_17_5_17_wgs_85_tpt_85_halfLds_sp_op_CI_CI_sbrr_dirReg.kd
    .uniform_work_group_size: 1
    .uses_dynamic_stack: false
    .vgpr_count:     124
    .vgpr_spill_count: 0
    .wavefront_size: 64
amdhsa.target:   amdgcn-amd-amdhsa--gfx950
amdhsa.version:
  - 1
  - 2
...

	.end_amdgpu_metadata
